;; amdgpu-corpus repo=ROCm/rocFFT kind=compiled arch=gfx906 opt=O3
	.text
	.amdgcn_target "amdgcn-amd-amdhsa--gfx906"
	.amdhsa_code_object_version 6
	.protected	fft_rtc_fwd_len2250_factors_10_3_5_3_5_wgs_90_tpt_90_halfLds_dp_ip_CI_sbrr_dirReg ; -- Begin function fft_rtc_fwd_len2250_factors_10_3_5_3_5_wgs_90_tpt_90_halfLds_dp_ip_CI_sbrr_dirReg
	.globl	fft_rtc_fwd_len2250_factors_10_3_5_3_5_wgs_90_tpt_90_halfLds_dp_ip_CI_sbrr_dirReg
	.p2align	8
	.type	fft_rtc_fwd_len2250_factors_10_3_5_3_5_wgs_90_tpt_90_halfLds_dp_ip_CI_sbrr_dirReg,@function
fft_rtc_fwd_len2250_factors_10_3_5_3_5_wgs_90_tpt_90_halfLds_dp_ip_CI_sbrr_dirReg: ; @fft_rtc_fwd_len2250_factors_10_3_5_3_5_wgs_90_tpt_90_halfLds_dp_ip_CI_sbrr_dirReg
; %bb.0:
	s_load_dwordx2 s[2:3], s[4:5], 0x18
	s_load_dwordx4 s[8:11], s[4:5], 0x0
	s_load_dwordx2 s[14:15], s[4:5], 0x50
	v_mul_u32_u24_e32 v1, 0x2d9, v0
	v_add_u32_sdwa v5, s6, v1 dst_sel:DWORD dst_unused:UNUSED_PAD src0_sel:DWORD src1_sel:WORD_1
	s_waitcnt lgkmcnt(0)
	s_load_dwordx2 s[12:13], s[2:3], 0x0
	v_cmp_lt_u64_e64 s[0:1], s[10:11], 2
	v_mov_b32_e32 v3, 0
	v_mov_b32_e32 v1, 0
	;; [unrolled: 1-line block ×3, first 2 shown]
	s_and_b64 vcc, exec, s[0:1]
	v_mov_b32_e32 v2, 0
	s_cbranch_vccnz .LBB0_8
; %bb.1:
	s_load_dwordx2 s[0:1], s[4:5], 0x10
	s_add_u32 s6, s2, 8
	s_addc_u32 s7, s3, 0
	v_mov_b32_e32 v1, 0
	v_mov_b32_e32 v2, 0
	s_waitcnt lgkmcnt(0)
	s_add_u32 s16, s0, 8
	s_addc_u32 s17, s1, 0
	s_mov_b64 s[18:19], 1
.LBB0_2:                                ; =>This Inner Loop Header: Depth=1
	s_load_dwordx2 s[20:21], s[16:17], 0x0
                                        ; implicit-def: $vgpr7_vgpr8
	s_waitcnt lgkmcnt(0)
	v_or_b32_e32 v4, s21, v6
	v_cmp_ne_u64_e32 vcc, 0, v[3:4]
	s_and_saveexec_b64 s[0:1], vcc
	s_xor_b64 s[22:23], exec, s[0:1]
	s_cbranch_execz .LBB0_4
; %bb.3:                                ;   in Loop: Header=BB0_2 Depth=1
	v_cvt_f32_u32_e32 v4, s20
	v_cvt_f32_u32_e32 v7, s21
	s_sub_u32 s0, 0, s20
	s_subb_u32 s1, 0, s21
	v_mac_f32_e32 v4, 0x4f800000, v7
	v_rcp_f32_e32 v4, v4
	v_mul_f32_e32 v4, 0x5f7ffffc, v4
	v_mul_f32_e32 v7, 0x2f800000, v4
	v_trunc_f32_e32 v7, v7
	v_mac_f32_e32 v4, 0xcf800000, v7
	v_cvt_u32_f32_e32 v7, v7
	v_cvt_u32_f32_e32 v4, v4
	v_mul_lo_u32 v8, s0, v7
	v_mul_hi_u32 v9, s0, v4
	v_mul_lo_u32 v11, s1, v4
	v_mul_lo_u32 v10, s0, v4
	v_add_u32_e32 v8, v9, v8
	v_add_u32_e32 v8, v8, v11
	v_mul_hi_u32 v9, v4, v10
	v_mul_lo_u32 v11, v4, v8
	v_mul_hi_u32 v13, v4, v8
	v_mul_hi_u32 v12, v7, v10
	v_mul_lo_u32 v10, v7, v10
	v_mul_hi_u32 v14, v7, v8
	v_add_co_u32_e32 v9, vcc, v9, v11
	v_addc_co_u32_e32 v11, vcc, 0, v13, vcc
	v_mul_lo_u32 v8, v7, v8
	v_add_co_u32_e32 v9, vcc, v9, v10
	v_addc_co_u32_e32 v9, vcc, v11, v12, vcc
	v_addc_co_u32_e32 v10, vcc, 0, v14, vcc
	v_add_co_u32_e32 v8, vcc, v9, v8
	v_addc_co_u32_e32 v9, vcc, 0, v10, vcc
	v_add_co_u32_e32 v4, vcc, v4, v8
	v_addc_co_u32_e32 v7, vcc, v7, v9, vcc
	v_mul_lo_u32 v8, s0, v7
	v_mul_hi_u32 v9, s0, v4
	v_mul_lo_u32 v10, s1, v4
	v_mul_lo_u32 v11, s0, v4
	v_add_u32_e32 v8, v9, v8
	v_add_u32_e32 v8, v8, v10
	v_mul_lo_u32 v12, v4, v8
	v_mul_hi_u32 v13, v4, v11
	v_mul_hi_u32 v14, v4, v8
	;; [unrolled: 1-line block ×3, first 2 shown]
	v_mul_lo_u32 v11, v7, v11
	v_mul_hi_u32 v9, v7, v8
	v_add_co_u32_e32 v12, vcc, v13, v12
	v_addc_co_u32_e32 v13, vcc, 0, v14, vcc
	v_mul_lo_u32 v8, v7, v8
	v_add_co_u32_e32 v11, vcc, v12, v11
	v_addc_co_u32_e32 v10, vcc, v13, v10, vcc
	v_addc_co_u32_e32 v9, vcc, 0, v9, vcc
	v_add_co_u32_e32 v8, vcc, v10, v8
	v_addc_co_u32_e32 v9, vcc, 0, v9, vcc
	v_add_co_u32_e32 v4, vcc, v4, v8
	v_addc_co_u32_e32 v9, vcc, v7, v9, vcc
	v_mad_u64_u32 v[7:8], s[0:1], v5, v9, 0
	v_mul_hi_u32 v10, v5, v4
	v_add_co_u32_e32 v11, vcc, v10, v7
	v_addc_co_u32_e32 v12, vcc, 0, v8, vcc
	v_mad_u64_u32 v[7:8], s[0:1], v6, v4, 0
	v_mad_u64_u32 v[9:10], s[0:1], v6, v9, 0
	v_add_co_u32_e32 v4, vcc, v11, v7
	v_addc_co_u32_e32 v4, vcc, v12, v8, vcc
	v_addc_co_u32_e32 v7, vcc, 0, v10, vcc
	v_add_co_u32_e32 v4, vcc, v4, v9
	v_addc_co_u32_e32 v9, vcc, 0, v7, vcc
	v_mul_lo_u32 v10, s21, v4
	v_mul_lo_u32 v11, s20, v9
	v_mad_u64_u32 v[7:8], s[0:1], s20, v4, 0
	v_add3_u32 v8, v8, v11, v10
	v_sub_u32_e32 v10, v6, v8
	v_mov_b32_e32 v11, s21
	v_sub_co_u32_e32 v7, vcc, v5, v7
	v_subb_co_u32_e64 v10, s[0:1], v10, v11, vcc
	v_subrev_co_u32_e64 v11, s[0:1], s20, v7
	v_subbrev_co_u32_e64 v10, s[0:1], 0, v10, s[0:1]
	v_cmp_le_u32_e64 s[0:1], s21, v10
	v_cndmask_b32_e64 v12, 0, -1, s[0:1]
	v_cmp_le_u32_e64 s[0:1], s20, v11
	v_cndmask_b32_e64 v11, 0, -1, s[0:1]
	v_cmp_eq_u32_e64 s[0:1], s21, v10
	v_cndmask_b32_e64 v10, v12, v11, s[0:1]
	v_add_co_u32_e64 v11, s[0:1], 2, v4
	v_addc_co_u32_e64 v12, s[0:1], 0, v9, s[0:1]
	v_add_co_u32_e64 v13, s[0:1], 1, v4
	v_addc_co_u32_e64 v14, s[0:1], 0, v9, s[0:1]
	v_subb_co_u32_e32 v8, vcc, v6, v8, vcc
	v_cmp_ne_u32_e64 s[0:1], 0, v10
	v_cmp_le_u32_e32 vcc, s21, v8
	v_cndmask_b32_e64 v10, v14, v12, s[0:1]
	v_cndmask_b32_e64 v12, 0, -1, vcc
	v_cmp_le_u32_e32 vcc, s20, v7
	v_cndmask_b32_e64 v7, 0, -1, vcc
	v_cmp_eq_u32_e32 vcc, s21, v8
	v_cndmask_b32_e32 v7, v12, v7, vcc
	v_cmp_ne_u32_e32 vcc, 0, v7
	v_cndmask_b32_e64 v7, v13, v11, s[0:1]
	v_cndmask_b32_e32 v8, v9, v10, vcc
	v_cndmask_b32_e32 v7, v4, v7, vcc
.LBB0_4:                                ;   in Loop: Header=BB0_2 Depth=1
	s_andn2_saveexec_b64 s[0:1], s[22:23]
	s_cbranch_execz .LBB0_6
; %bb.5:                                ;   in Loop: Header=BB0_2 Depth=1
	v_cvt_f32_u32_e32 v4, s20
	s_sub_i32 s22, 0, s20
	v_rcp_iflag_f32_e32 v4, v4
	v_mul_f32_e32 v4, 0x4f7ffffe, v4
	v_cvt_u32_f32_e32 v4, v4
	v_mul_lo_u32 v7, s22, v4
	v_mul_hi_u32 v7, v4, v7
	v_add_u32_e32 v4, v4, v7
	v_mul_hi_u32 v4, v5, v4
	v_mul_lo_u32 v7, v4, s20
	v_add_u32_e32 v8, 1, v4
	v_sub_u32_e32 v7, v5, v7
	v_subrev_u32_e32 v9, s20, v7
	v_cmp_le_u32_e32 vcc, s20, v7
	v_cndmask_b32_e32 v7, v7, v9, vcc
	v_cndmask_b32_e32 v4, v4, v8, vcc
	v_add_u32_e32 v8, 1, v4
	v_cmp_le_u32_e32 vcc, s20, v7
	v_cndmask_b32_e32 v7, v4, v8, vcc
	v_mov_b32_e32 v8, v3
.LBB0_6:                                ;   in Loop: Header=BB0_2 Depth=1
	s_or_b64 exec, exec, s[0:1]
	v_mul_lo_u32 v4, v8, s20
	v_mul_lo_u32 v11, v7, s21
	v_mad_u64_u32 v[9:10], s[0:1], v7, s20, 0
	s_load_dwordx2 s[0:1], s[6:7], 0x0
	s_add_u32 s18, s18, 1
	v_add3_u32 v4, v10, v11, v4
	v_sub_co_u32_e32 v5, vcc, v5, v9
	v_subb_co_u32_e32 v4, vcc, v6, v4, vcc
	s_waitcnt lgkmcnt(0)
	v_mul_lo_u32 v4, s0, v4
	v_mul_lo_u32 v6, s1, v5
	v_mad_u64_u32 v[1:2], s[0:1], s0, v5, v[1:2]
	s_addc_u32 s19, s19, 0
	s_add_u32 s6, s6, 8
	v_add3_u32 v2, v6, v2, v4
	v_mov_b32_e32 v4, s10
	v_mov_b32_e32 v5, s11
	s_addc_u32 s7, s7, 0
	v_cmp_ge_u64_e32 vcc, s[18:19], v[4:5]
	s_add_u32 s16, s16, 8
	s_addc_u32 s17, s17, 0
	s_cbranch_vccnz .LBB0_9
; %bb.7:                                ;   in Loop: Header=BB0_2 Depth=1
	v_mov_b32_e32 v5, v7
	v_mov_b32_e32 v6, v8
	s_branch .LBB0_2
.LBB0_8:
	v_mov_b32_e32 v8, v6
	v_mov_b32_e32 v7, v5
.LBB0_9:
	s_lshl_b64 s[0:1], s[10:11], 3
	s_add_u32 s0, s2, s0
	s_addc_u32 s1, s3, s1
	s_load_dwordx2 s[2:3], s[0:1], 0x0
	s_load_dwordx2 s[6:7], s[4:5], 0x20
                                        ; implicit-def: $vgpr193
	s_waitcnt lgkmcnt(0)
	v_mad_u64_u32 v[1:2], s[0:1], s2, v7, v[1:2]
	s_mov_b32 s0, 0x2d82d83
	v_mul_lo_u32 v3, s2, v8
	v_mul_lo_u32 v4, s3, v7
	v_mul_hi_u32 v5, v0, s0
	v_cmp_gt_u64_e32 vcc, s[6:7], v[7:8]
	v_cmp_le_u64_e64 s[0:1], s[6:7], v[7:8]
	v_add3_u32 v2, v4, v2, v3
	v_mul_u32_u24_e32 v3, 0x5a, v5
	v_sub_u32_e32 v192, v0, v3
	s_and_saveexec_b64 s[2:3], s[0:1]
	s_xor_b64 s[0:1], exec, s[2:3]
; %bb.10:
	v_add_u32_e32 v193, 0x5a, v192
; %bb.11:
	s_or_saveexec_b64 s[2:3], s[0:1]
	v_lshlrev_b64 v[170:171], 4, v[1:2]
                                        ; implicit-def: $vgpr118_vgpr119
                                        ; implicit-def: $vgpr86_vgpr87
                                        ; implicit-def: $vgpr114_vgpr115
                                        ; implicit-def: $vgpr82_vgpr83
                                        ; implicit-def: $vgpr110_vgpr111
                                        ; implicit-def: $vgpr70_vgpr71
                                        ; implicit-def: $vgpr74_vgpr75
                                        ; implicit-def: $vgpr26_vgpr27
                                        ; implicit-def: $vgpr66_vgpr67
                                        ; implicit-def: $vgpr18_vgpr19
                                        ; implicit-def: $vgpr22_vgpr23
                                        ; implicit-def: $vgpr34_vgpr35
                                        ; implicit-def: $vgpr30_vgpr31
                                        ; implicit-def: $vgpr38_vgpr39
                                        ; implicit-def: $vgpr50_vgpr51
                                        ; implicit-def: $vgpr46_vgpr47
                                        ; implicit-def: $vgpr62_vgpr63
                                        ; implicit-def: $vgpr42_vgpr43
                                        ; implicit-def: $vgpr58_vgpr59
                                        ; implicit-def: $vgpr54_vgpr55
                                        ; implicit-def: $vgpr78_vgpr79
                                        ; implicit-def: $vgpr98_vgpr99
                                        ; implicit-def: $vgpr94_vgpr95
                                        ; implicit-def: $vgpr106_vgpr107
                                        ; implicit-def: $vgpr90_vgpr91
                                        ; implicit-def: $vgpr102_vgpr103
                                        ; implicit-def: $vgpr10_vgpr11
                                        ; implicit-def: $vgpr14_vgpr15
                                        ; implicit-def: $vgpr2_vgpr3
                                        ; implicit-def: $vgpr6_vgpr7
	s_xor_b64 exec, exec, s[2:3]
	s_cbranch_execz .LBB0_15
; %bb.12:
	v_mad_u64_u32 v[0:1], s[0:1], s12, v192, 0
	v_add_u32_e32 v5, 0xe1, v192
	v_mov_b32_e32 v4, s15
	v_mad_u64_u32 v[1:2], s[0:1], s13, v192, v[1:2]
	v_mad_u64_u32 v[2:3], s[0:1], s12, v5, 0
	v_add_co_u32_e64 v86, s[0:1], s14, v170
	v_addc_co_u32_e64 v87, s[0:1], v4, v171, s[0:1]
	v_mad_u64_u32 v[3:4], s[0:1], s13, v5, v[3:4]
	v_lshlrev_b64 v[0:1], 4, v[0:1]
	v_add_u32_e32 v17, 0x2a3, v192
	v_add_co_u32_e64 v8, s[0:1], v86, v0
	v_addc_co_u32_e64 v9, s[0:1], v87, v1, s[0:1]
	v_lshlrev_b64 v[0:1], 4, v[2:3]
	v_add_u32_e32 v2, 0x1c2, v192
	v_mad_u64_u32 v[10:11], s[0:1], s12, v2, 0
	v_add_co_u32_e64 v12, s[0:1], v86, v0
	v_mov_b32_e32 v0, v11
	v_addc_co_u32_e64 v13, s[0:1], v87, v1, s[0:1]
	v_mad_u64_u32 v[14:15], s[0:1], s13, v2, v[0:1]
	v_mad_u64_u32 v[15:16], s[0:1], s12, v17, 0
	v_mov_b32_e32 v11, v14
	global_load_dwordx4 v[4:7], v[8:9], off
	global_load_dwordx4 v[0:3], v[12:13], off
	v_lshlrev_b64 v[8:9], 4, v[10:11]
	v_mov_b32_e32 v10, v16
	v_mad_u64_u32 v[10:11], s[0:1], s13, v17, v[10:11]
	v_add_co_u32_e64 v17, s[0:1], v86, v8
	v_mov_b32_e32 v16, v10
	v_add_u32_e32 v10, 0x384, v192
	v_addc_co_u32_e64 v18, s[0:1], v87, v9, s[0:1]
	v_mad_u64_u32 v[19:20], s[0:1], s12, v10, 0
	v_lshlrev_b64 v[8:9], 4, v[15:16]
	v_add_u32_e32 v26, 0x465, v192
	v_add_co_u32_e64 v21, s[0:1], v86, v8
	v_mov_b32_e32 v8, v20
	v_addc_co_u32_e64 v22, s[0:1], v87, v9, s[0:1]
	v_mad_u64_u32 v[23:24], s[0:1], s13, v10, v[8:9]
	v_mad_u64_u32 v[24:25], s[0:1], s12, v26, 0
	global_load_dwordx4 v[12:15], v[17:18], off
	global_load_dwordx4 v[8:11], v[21:22], off
	v_mov_b32_e32 v20, v23
	v_mov_b32_e32 v18, v25
	v_lshlrev_b64 v[16:17], 4, v[19:20]
	v_mad_u64_u32 v[18:19], s[0:1], s13, v26, v[18:19]
	v_add_u32_e32 v23, 0x546, v192
	v_mad_u64_u32 v[19:20], s[0:1], s12, v23, 0
	v_add_co_u32_e64 v16, s[0:1], v86, v16
	v_mov_b32_e32 v25, v18
	v_mov_b32_e32 v18, v20
	v_addc_co_u32_e64 v17, s[0:1], v87, v17, s[0:1]
	v_lshlrev_b64 v[21:22], 4, v[24:25]
	v_mad_u64_u32 v[23:24], s[0:1], s13, v23, v[18:19]
	v_add_u32_e32 v26, 0x627, v192
	v_mad_u64_u32 v[24:25], s[0:1], s12, v26, 0
	v_mov_b32_e32 v20, v23
	v_add_co_u32_e64 v21, s[0:1], v86, v21
	v_lshlrev_b64 v[18:19], 4, v[19:20]
	v_mov_b32_e32 v20, v25
	v_addc_co_u32_e64 v22, s[0:1], v87, v22, s[0:1]
	v_mad_u64_u32 v[25:26], s[0:1], s13, v26, v[20:21]
	v_add_u32_e32 v28, 0x708, v192
	v_mad_u64_u32 v[26:27], s[0:1], s12, v28, 0
	v_add_co_u32_e64 v18, s[0:1], v86, v18
	v_mov_b32_e32 v20, v27
	v_addc_co_u32_e64 v19, s[0:1], v87, v19, s[0:1]
	v_lshlrev_b64 v[23:24], 4, v[24:25]
	v_mad_u64_u32 v[27:28], s[0:1], s13, v28, v[20:21]
	v_add_u32_e32 v25, 0x7e9, v192
	v_mad_u64_u32 v[28:29], s[0:1], s12, v25, 0
	v_add_co_u32_e64 v64, s[0:1], v86, v23
	v_mov_b32_e32 v20, v29
	v_addc_co_u32_e64 v65, s[0:1], v87, v24, s[0:1]
	v_lshlrev_b64 v[23:24], 4, v[26:27]
	v_mad_u64_u32 v[25:26], s[0:1], s13, v25, v[20:21]
	v_add_u32_e32 v193, 0x5a, v192
	v_mad_u64_u32 v[26:27], s[0:1], s12, v193, 0
	v_add_co_u32_e64 v66, s[0:1], v86, v23
	v_mov_b32_e32 v29, v25
	v_mov_b32_e32 v20, v27
	v_addc_co_u32_e64 v67, s[0:1], v87, v24, s[0:1]
	v_lshlrev_b64 v[23:24], 4, v[28:29]
	v_mad_u64_u32 v[27:28], s[0:1], s13, v193, v[20:21]
	v_add_u32_e32 v25, 0x13b, v192
	v_mad_u64_u32 v[28:29], s[0:1], s12, v25, 0
	v_add_co_u32_e64 v68, s[0:1], v86, v23
	v_mov_b32_e32 v20, v29
	v_addc_co_u32_e64 v69, s[0:1], v87, v24, s[0:1]
	v_lshlrev_b64 v[23:24], 4, v[26:27]
	v_mad_u64_u32 v[25:26], s[0:1], s13, v25, v[20:21]
	v_add_u32_e32 v30, 0x21c, v192
	v_mad_u64_u32 v[26:27], s[0:1], s12, v30, 0
	v_add_co_u32_e64 v70, s[0:1], v86, v23
	v_mov_b32_e32 v29, v25
	;; [unrolled: 15-line block ×5, first 2 shown]
	v_mov_b32_e32 v20, v27
	v_addc_co_u32_e64 v109, s[0:1], v87, v24, s[0:1]
	v_lshlrev_b64 v[23:24], 4, v[28:29]
	v_mad_u64_u32 v[27:28], s[0:1], s13, v30, v[20:21]
	v_add_u32_e32 v25, 0x843, v192
	v_mad_u64_u32 v[28:29], s[0:1], s12, v25, 0
	v_add_co_u32_e64 v110, s[0:1], v86, v23
	v_mov_b32_e32 v20, v29
	v_addc_co_u32_e64 v111, s[0:1], v87, v24, s[0:1]
	v_lshlrev_b64 v[23:24], 4, v[26:27]
	v_mad_u64_u32 v[25:26], s[0:1], s13, v25, v[20:21]
	v_add_co_u32_e64 v26, s[0:1], v86, v23
	v_mov_b32_e32 v29, v25
	global_load_dwordx4 v[100:103], v[16:17], off
	global_load_dwordx4 v[88:91], v[21:22], off
	v_lshlrev_b64 v[16:17], 4, v[28:29]
	v_addc_co_u32_e64 v27, s[0:1], v87, v24, s[0:1]
	v_add_co_u32_e64 v16, s[0:1], v86, v16
	v_addc_co_u32_e64 v17, s[0:1], v87, v17, s[0:1]
	global_load_dwordx4 v[104:107], v[18:19], off
	global_load_dwordx4 v[92:95], v[64:65], off
	;; [unrolled: 1-line block ×14, first 2 shown]
	v_cmp_gt_u32_e64 s[0:1], 45, v192
                                        ; implicit-def: $vgpr16_vgpr17
                                        ; implicit-def: $vgpr64_vgpr65
                                        ; implicit-def: $vgpr24_vgpr25
                                        ; implicit-def: $vgpr72_vgpr73
                                        ; implicit-def: $vgpr68_vgpr69
                                        ; implicit-def: $vgpr108_vgpr109
                                        ; implicit-def: $vgpr80_vgpr81
                                        ; implicit-def: $vgpr112_vgpr113
                                        ; implicit-def: $vgpr84_vgpr85
                                        ; implicit-def: $vgpr116_vgpr117
	s_and_saveexec_b64 s[4:5], s[0:1]
	s_cbranch_execz .LBB0_14
; %bb.13:
	v_add_u32_e32 v24, 0xb4, v192
	v_add_u32_e32 v26, 0x195, v192
	v_mad_u64_u32 v[16:17], s[0:1], s12, v24, 0
	v_mad_u64_u32 v[18:19], s[0:1], s12, v26, 0
	v_add_u32_e32 v27, 0x357, v192
	v_add_u32_e32 v84, 0x519, v192
	v_mad_u64_u32 v[24:25], s[0:1], s13, v24, v[17:18]
	v_add_u32_e32 v115, 0x6db, v192
	v_add_u32_e32 v123, 0x89d, v192
	v_mov_b32_e32 v17, v24
	s_waitcnt vmcnt(0)
	v_mad_u64_u32 v[24:25], s[0:1], s13, v26, v[19:20]
	v_lshlrev_b64 v[16:17], 4, v[16:17]
	v_add_co_u32_e64 v25, s[0:1], v86, v16
	v_mov_b32_e32 v19, v24
	v_addc_co_u32_e64 v26, s[0:1], v87, v17, s[0:1]
	v_lshlrev_b64 v[16:17], 4, v[18:19]
	v_add_u32_e32 v18, 0x276, v192
	v_mad_u64_u32 v[68:69], s[0:1], s12, v18, 0
	v_add_co_u32_e64 v70, s[0:1], v86, v16
	v_mov_b32_e32 v16, v69
	v_addc_co_u32_e64 v71, s[0:1], v87, v17, s[0:1]
	v_mad_u64_u32 v[72:73], s[0:1], s13, v18, v[16:17]
	v_mad_u64_u32 v[73:74], s[0:1], s12, v27, 0
	global_load_dwordx4 v[16:19], v[25:26], off
	global_load_dwordx4 v[64:67], v[70:71], off
	v_mov_b32_e32 v69, v72
	v_mov_b32_e32 v26, v74
	v_mad_u64_u32 v[26:27], s[0:1], s13, v27, v[26:27]
	v_lshlrev_b64 v[24:25], 4, v[68:69]
	v_add_co_u32_e64 v68, s[0:1], v86, v24
	v_mov_b32_e32 v74, v26
	v_add_u32_e32 v26, 0x438, v192
	v_addc_co_u32_e64 v69, s[0:1], v87, v25, s[0:1]
	v_mad_u64_u32 v[70:71], s[0:1], s12, v26, 0
	v_lshlrev_b64 v[24:25], 4, v[73:74]
	v_add_co_u32_e64 v80, s[0:1], v86, v24
	v_mov_b32_e32 v24, v71
	v_addc_co_u32_e64 v81, s[0:1], v87, v25, s[0:1]
	v_mad_u64_u32 v[71:72], s[0:1], s13, v26, v[24:25]
	v_mad_u64_u32 v[82:83], s[0:1], s12, v84, 0
	global_load_dwordx4 v[24:27], v[68:69], off
	global_load_dwordx4 v[72:75], v[80:81], off
	v_lshlrev_b64 v[68:69], 4, v[70:71]
	v_mov_b32_e32 v70, v83
	v_mad_u64_u32 v[70:71], s[0:1], s13, v84, v[70:71]
	v_add_co_u32_e64 v80, s[0:1], v86, v68
	v_mov_b32_e32 v83, v70
	v_add_u32_e32 v70, 0x5fa, v192
	v_addc_co_u32_e64 v81, s[0:1], v87, v69, s[0:1]
	v_lshlrev_b64 v[68:69], 4, v[82:83]
	v_mad_u64_u32 v[82:83], s[0:1], s12, v70, 0
	v_add_co_u32_e64 v84, s[0:1], v86, v68
	v_mov_b32_e32 v68, v83
	v_addc_co_u32_e64 v85, s[0:1], v87, v69, s[0:1]
	v_mad_u64_u32 v[112:113], s[0:1], s13, v70, v[68:69]
	v_mad_u64_u32 v[113:114], s[0:1], s12, v115, 0
	v_mov_b32_e32 v83, v112
	global_load_dwordx4 v[68:71], v[80:81], off
	global_load_dwordx4 v[108:111], v[84:85], off
	v_lshlrev_b64 v[80:81], 4, v[82:83]
	v_mov_b32_e32 v82, v114
	v_mad_u64_u32 v[82:83], s[0:1], s13, v115, v[82:83]
	v_add_co_u32_e64 v84, s[0:1], v86, v80
	v_mov_b32_e32 v114, v82
	v_add_u32_e32 v82, 0x7bc, v192
	v_addc_co_u32_e64 v85, s[0:1], v87, v81, s[0:1]
	v_mad_u64_u32 v[116:117], s[0:1], s12, v82, 0
	v_lshlrev_b64 v[80:81], 4, v[113:114]
	v_add_co_u32_e64 v118, s[0:1], v86, v80
	v_mov_b32_e32 v80, v117
	v_addc_co_u32_e64 v119, s[0:1], v87, v81, s[0:1]
	v_mad_u64_u32 v[120:121], s[0:1], s13, v82, v[80:81]
	v_mad_u64_u32 v[121:122], s[0:1], s12, v123, 0
	v_mov_b32_e32 v117, v120
	global_load_dwordx4 v[80:83], v[84:85], off
	global_load_dwordx4 v[112:115], v[118:119], off
	v_lshlrev_b64 v[84:85], 4, v[116:117]
	v_mov_b32_e32 v116, v122
	v_mad_u64_u32 v[116:117], s[0:1], s13, v123, v[116:117]
	v_add_co_u32_e64 v123, s[0:1], v86, v84
	v_mov_b32_e32 v122, v116
	v_addc_co_u32_e64 v124, s[0:1], v87, v85, s[0:1]
	v_lshlrev_b64 v[84:85], 4, v[121:122]
	v_add_co_u32_e64 v120, s[0:1], v86, v84
	v_addc_co_u32_e64 v121, s[0:1], v87, v85, s[0:1]
	global_load_dwordx4 v[84:87], v[123:124], off
	global_load_dwordx4 v[116:119], v[120:121], off
.LBB0_14:
	s_or_b64 exec, exec, s[4:5]
.LBB0_15:
	s_or_b64 exec, exec, s[2:3]
	s_waitcnt vmcnt(11)
	v_add_f64 v[122:123], v[96:97], v[12:13]
	v_add_f64 v[120:121], v[104:105], v[100:101]
	v_add_f64 v[124:125], v[12:13], -v[100:101]
	v_add_f64 v[126:127], v[96:97], -v[104:105]
	;; [unrolled: 1-line block ×5, first 2 shown]
	s_mov_b32 s0, 0x134454ff
	v_fma_f64 v[122:123], v[122:123], -0.5, v[4:5]
	s_mov_b32 s1, 0x3fee6f0e
	s_mov_b32 s5, 0xbfee6f0e
	;; [unrolled: 1-line block ×3, first 2 shown]
	v_add_f64 v[132:133], v[14:15], -v[98:99]
	v_fma_f64 v[120:121], v[120:121], -0.5, v[4:5]
	v_add_f64 v[124:125], v[126:127], v[124:125]
	v_add_f64 v[126:127], v[130:131], v[128:129]
	v_fma_f64 v[130:131], v[134:135], s[4:5], v[122:123]
	v_fma_f64 v[122:123], v[134:135], s[0:1], v[122:123]
	s_mov_b32 s6, 0x4755a5e
	s_mov_b32 s7, 0x3fe2cf23
	s_mov_b32 s11, 0xbfe2cf23
	s_mov_b32 s10, s6
	v_fma_f64 v[128:129], v[132:133], s[0:1], v[120:121]
	v_fma_f64 v[120:121], v[132:133], s[4:5], v[120:121]
	v_add_f64 v[136:137], v[92:93], v[88:89]
	v_fma_f64 v[130:131], v[132:133], s[6:7], v[130:131]
	v_fma_f64 v[122:123], v[132:133], s[10:11], v[122:123]
	s_waitcnt vmcnt(10)
	v_add_f64 v[132:133], v[76:77], v[8:9]
	v_add_f64 v[138:139], v[10:11], -v[78:79]
	v_add_f64 v[140:141], v[76:77], -v[92:93]
	v_fma_f64 v[128:129], v[134:135], s[6:7], v[128:129]
	v_fma_f64 v[120:121], v[134:135], s[10:11], v[120:121]
	v_add_f64 v[134:135], v[8:9], -v[88:89]
	v_fma_f64 v[136:137], v[136:137], -0.5, v[0:1]
	v_add_f64 v[142:143], v[90:91], -v[94:95]
	v_fma_f64 v[132:133], v[132:133], -0.5, v[0:1]
	s_mov_b32 s16, 0x372fe950
	s_mov_b32 s17, 0x3fd3c6ef
	v_fma_f64 v[128:129], v[124:125], s[16:17], v[128:129]
	v_fma_f64 v[144:145], v[124:125], s[16:17], v[120:121]
	v_add_f64 v[124:125], v[140:141], v[134:135]
	v_fma_f64 v[120:121], v[138:139], s[0:1], v[136:137]
	v_fma_f64 v[134:135], v[138:139], s[4:5], v[136:137]
	v_add_f64 v[136:137], v[94:95], v[90:91]
	v_add_f64 v[140:141], v[88:89], -v[8:9]
	v_add_f64 v[146:147], v[92:93], -v[76:77]
	v_fma_f64 v[148:149], v[142:143], s[4:5], v[132:133]
	v_add_f64 v[150:151], v[78:79], v[10:11]
	v_fma_f64 v[132:133], v[142:143], s[0:1], v[132:133]
	v_fma_f64 v[120:121], v[142:143], s[6:7], v[120:121]
	;; [unrolled: 1-line block ×3, first 2 shown]
	v_fma_f64 v[136:137], v[136:137], -0.5, v[2:3]
	v_add_f64 v[142:143], v[8:9], -v[76:77]
	v_add_f64 v[140:141], v[146:147], v[140:141]
	v_fma_f64 v[146:147], v[138:139], s[6:7], v[148:149]
	v_fma_f64 v[148:149], v[150:151], -0.5, v[2:3]
	v_add_f64 v[150:151], v[88:89], -v[92:93]
	v_fma_f64 v[132:133], v[138:139], s[10:11], v[132:133]
	v_add_f64 v[138:139], v[10:11], -v[90:91]
	v_add_f64 v[152:153], v[78:79], -v[94:95]
	v_fma_f64 v[154:155], v[142:143], s[4:5], v[136:137]
	v_add_f64 v[4:5], v[12:13], v[4:5]
	v_add_f64 v[0:1], v[8:9], v[0:1]
	v_fma_f64 v[136:137], v[142:143], s[0:1], v[136:137]
	v_fma_f64 v[160:161], v[150:151], s[0:1], v[148:149]
	;; [unrolled: 1-line block ×3, first 2 shown]
	v_add_f64 v[156:157], v[90:91], -v[10:11]
	v_add_f64 v[158:159], v[94:95], -v[78:79]
	v_add_f64 v[138:139], v[152:153], v[138:139]
	v_fma_f64 v[8:9], v[150:151], s[10:11], v[154:155]
	v_add_f64 v[154:155], v[100:101], v[4:5]
	v_fma_f64 v[174:175], v[124:125], s[16:17], v[120:121]
	v_fma_f64 v[152:153], v[142:143], s[10:11], v[160:161]
	;; [unrolled: 1-line block ×3, first 2 shown]
	v_add_f64 v[148:149], v[88:89], v[0:1]
	s_mov_b32 s2, 0x9b97f4a8
	s_mov_b32 s3, 0x3fe9e377
	v_fma_f64 v[136:137], v[150:151], s[6:7], v[136:137]
	v_add_f64 v[150:151], v[158:159], v[156:157]
	v_fma_f64 v[0:1], v[124:125], s[16:17], v[134:135]
	v_fma_f64 v[172:173], v[140:141], s[16:17], v[146:147]
	;; [unrolled: 1-line block ×4, first 2 shown]
	v_add_f64 v[120:121], v[104:105], v[154:155]
	v_add_f64 v[124:125], v[92:93], v[148:149]
	v_mul_f64 v[132:133], v[174:175], s[2:3]
	v_fma_f64 v[92:93], v[150:151], s[16:17], v[152:153]
	v_fma_f64 v[88:89], v[138:139], s[16:17], v[136:137]
	v_fma_f64 v[176:177], v[150:151], s[16:17], v[142:143]
	v_mul_f64 v[136:137], v[4:5], s[16:17]
	v_mul_f64 v[138:139], v[0:1], s[2:3]
	v_add_f64 v[134:135], v[96:97], v[120:121]
	v_mul_f64 v[120:121], v[172:173], s[16:17]
	v_add_f64 v[76:77], v[76:77], v[124:125]
	v_fma_f64 v[124:125], v[8:9], s[6:7], v[132:133]
	s_waitcnt vmcnt(3)
	v_add_f64 v[132:133], v[36:37], v[44:45]
	v_fma_f64 v[130:131], v[126:127], s[16:17], v[130:131]
	s_waitcnt vmcnt(1)
	v_add_f64 v[146:147], v[42:43], -v[34:35]
	v_add_f64 v[148:149], v[32:33], v[40:41]
	v_fma_f64 v[140:141], v[126:127], s[16:17], v[122:123]
	v_fma_f64 v[142:143], v[92:93], s[0:1], v[120:121]
	v_fma_f64 v[136:137], v[176:177], s[0:1], -v[136:137]
	v_fma_f64 v[138:139], v[88:89], s[6:7], -v[138:139]
	v_fma_f64 v[132:133], v[132:133], -0.5, v[52:53]
	v_add_f64 v[120:121], v[76:77], v[134:135]
	v_add_f64 v[122:123], v[128:129], v[124:125]
	v_add_f64 v[124:125], v[128:129], -v[124:125]
	v_add_f64 v[150:151], v[32:33], -v[36:37]
	;; [unrolled: 1-line block ×3, first 2 shown]
	v_add_f64 v[128:129], v[130:131], v[142:143]
	v_add_f64 v[142:143], v[40:41], -v[44:45]
	v_fma_f64 v[152:153], v[146:147], s[0:1], v[132:133]
	v_add_f64 v[154:155], v[46:47], -v[38:39]
	v_fma_f64 v[156:157], v[146:147], s[4:5], v[132:133]
	v_add_f64 v[134:135], v[134:135], -v[76:77]
	v_fma_f64 v[76:77], v[148:149], -0.5, v[52:53]
	v_add_f64 v[148:149], v[28:29], v[48:49]
	v_add_f64 v[130:131], v[140:141], v[136:137]
	v_add_f64 v[132:133], v[144:145], v[138:139]
	v_add_f64 v[136:137], v[140:141], -v[136:137]
	v_add_f64 v[138:139], v[144:145], -v[138:139]
	v_add_f64 v[140:141], v[150:151], v[142:143]
	v_fma_f64 v[142:143], v[154:155], s[6:7], v[152:153]
	v_fma_f64 v[144:145], v[154:155], s[10:11], v[156:157]
	v_add_f64 v[150:151], v[44:45], -v[40:41]
	v_add_f64 v[152:153], v[36:37], -v[32:33]
	v_fma_f64 v[156:157], v[154:155], s[4:5], v[76:77]
	v_fma_f64 v[76:77], v[154:155], s[0:1], v[76:77]
	s_waitcnt vmcnt(0)
	v_add_f64 v[154:155], v[20:21], v[60:61]
	v_add_f64 v[158:159], v[60:61], -v[48:49]
	v_add_f64 v[160:161], v[20:21], -v[28:29]
	v_fma_f64 v[148:149], v[148:149], -0.5, v[56:57]
	v_add_f64 v[162:163], v[62:63], -v[22:23]
	v_add_f64 v[150:151], v[152:153], v[150:151]
	v_fma_f64 v[152:153], v[146:147], s[6:7], v[156:157]
	v_fma_f64 v[146:147], v[146:147], s[10:11], v[76:77]
	v_fma_f64 v[76:77], v[154:155], -0.5, v[56:57]
	v_add_f64 v[154:155], v[50:51], -v[30:31]
	v_fma_f64 v[156:157], v[140:141], s[16:17], v[142:143]
	v_add_f64 v[142:143], v[160:161], v[158:159]
	v_fma_f64 v[158:159], v[162:163], s[0:1], v[148:149]
	v_fma_f64 v[148:149], v[162:163], s[4:5], v[148:149]
	v_add_f64 v[160:161], v[30:31], v[50:51]
	v_add_f64 v[164:165], v[48:49], -v[60:61]
	v_add_f64 v[166:167], v[28:29], -v[20:21]
	v_fma_f64 v[168:169], v[154:155], s[4:5], v[76:77]
	v_fma_f64 v[76:77], v[154:155], s[0:1], v[76:77]
	v_add_f64 v[178:179], v[22:23], v[62:63]
	v_fma_f64 v[158:159], v[154:155], s[6:7], v[158:159]
	v_fma_f64 v[148:149], v[154:155], s[10:11], v[148:149]
	v_fma_f64 v[154:155], v[160:161], -0.5, v[58:59]
	v_add_f64 v[160:161], v[60:61], -v[20:21]
	v_add_f64 v[164:165], v[166:167], v[164:165]
	v_fma_f64 v[166:167], v[162:163], s[6:7], v[168:169]
	v_fma_f64 v[76:77], v[162:163], s[10:11], v[76:77]
	v_fma_f64 v[162:163], v[178:179], -0.5, v[58:59]
	v_add_f64 v[168:169], v[48:49], -v[28:29]
	v_add_f64 v[178:179], v[62:63], -v[50:51]
	;; [unrolled: 1-line block ×3, first 2 shown]
	v_fma_f64 v[182:183], v[160:161], s[4:5], v[154:155]
	v_fma_f64 v[154:155], v[160:161], s[0:1], v[154:155]
	v_add_f64 v[184:185], v[50:51], -v[62:63]
	v_add_f64 v[186:187], v[30:31], -v[22:23]
	v_add_f64 v[56:57], v[60:61], v[56:57]
	v_add_f64 v[52:53], v[40:41], v[52:53]
	v_fma_f64 v[188:189], v[168:169], s[0:1], v[162:163]
	v_fma_f64 v[162:163], v[168:169], s[4:5], v[162:163]
	v_add_f64 v[190:191], v[180:181], v[178:179]
	v_fma_f64 v[180:181], v[168:169], s[10:11], v[182:183]
	v_fma_f64 v[154:155], v[168:169], s[6:7], v[154:155]
	v_add_f64 v[168:169], v[186:187], v[184:185]
	v_add_f64 v[56:57], v[48:49], v[56:57]
	v_fma_f64 v[184:185], v[142:143], s[16:17], v[158:159]
	v_add_f64 v[52:53], v[44:45], v[52:53]
	v_fma_f64 v[48:49], v[142:143], s[16:17], v[148:149]
	v_fma_f64 v[182:183], v[160:161], s[10:11], v[188:189]
	;; [unrolled: 1-line block ×5, first 2 shown]
	v_add_f64 v[56:57], v[28:29], v[56:57]
	v_mul_f64 v[142:143], v[184:185], s[2:3]
	v_fma_f64 v[60:61], v[164:165], s[16:17], v[76:77]
	v_add_f64 v[52:53], v[36:37], v[52:53]
	v_fma_f64 v[76:77], v[190:191], s[16:17], v[154:155]
	v_fma_f64 v[28:29], v[168:169], s[16:17], v[182:183]
	;; [unrolled: 1-line block ×3, first 2 shown]
	v_mul_f64 v[148:149], v[178:179], s[16:17]
	v_add_f64 v[20:21], v[20:21], v[56:57]
	v_fma_f64 v[56:57], v[180:181], s[6:7], v[142:143]
	v_mul_f64 v[154:155], v[60:61], s[16:17]
	v_add_f64 v[52:53], v[32:33], v[52:53]
	v_mul_f64 v[158:159], v[48:49], s[2:3]
	v_add_f64 v[166:167], v[80:81], v[68:69]
	v_fma_f64 v[160:161], v[140:141], s[16:17], v[144:145]
	v_fma_f64 v[152:153], v[150:151], s[16:17], v[152:153]
	v_fma_f64 v[148:149], v[28:29], s[0:1], v[148:149]
	v_add_f64 v[142:143], v[156:157], v[56:57]
	v_add_f64 v[144:145], v[156:157], -v[56:57]
	v_mul_u32_u24_e32 v56, 10, v192
	v_lshl_add_u32 v195, v56, 3, 0
	v_fma_f64 v[162:163], v[150:151], s[16:17], v[146:147]
	v_fma_f64 v[164:165], v[182:183], s[0:1], -v[154:155]
	v_fma_f64 v[158:159], v[76:77], s[6:7], -v[158:159]
	v_add_f64 v[140:141], v[20:21], v[52:53]
	v_add_f64 v[154:155], v[52:53], -v[20:21]
	v_fma_f64 v[20:21], v[166:167], -0.5, v[16:17]
	v_add_f64 v[52:53], v[26:27], -v[86:87]
	ds_write_b128 v195, v[120:123]
	v_add_f64 v[120:121], v[112:113], v[108:109]
	v_add_f64 v[146:147], v[152:153], -v[148:149]
	v_add_f64 v[148:149], v[152:153], v[148:149]
	v_add_f64 v[150:151], v[162:163], v[164:165]
	;; [unrolled: 1-line block ×3, first 2 shown]
	v_add_f64 v[156:157], v[162:163], -v[164:165]
	v_add_f64 v[158:159], v[160:161], -v[158:159]
	;; [unrolled: 1-line block ×4, first 2 shown]
	v_fma_f64 v[162:163], v[52:53], s[0:1], v[20:21]
	v_add_f64 v[56:57], v[70:71], -v[82:83]
	v_fma_f64 v[20:21], v[52:53], s[4:5], v[20:21]
	ds_write_b128 v195, v[128:131] offset:16
	ds_write_b128 v195, v[132:135] offset:32
	v_fma_f64 v[120:121], v[120:121], -0.5, v[64:65]
	v_add_f64 v[130:131], v[74:75], -v[118:119]
	ds_write_b128 v195, v[124:127] offset:48
	v_add_f64 v[122:123], v[160:161], v[122:123]
	v_add_f64 v[126:127], v[116:117], v[72:73]
	v_fma_f64 v[124:125], v[56:57], s[6:7], v[162:163]
	v_fma_f64 v[20:21], v[56:57], s[10:11], v[20:21]
	v_add_f64 v[132:133], v[72:73], -v[108:109]
	v_add_f64 v[134:135], v[116:117], -v[112:113]
	v_fma_f64 v[160:161], v[130:131], s[0:1], v[120:121]
	v_add_f64 v[162:163], v[110:111], -v[114:115]
	v_fma_f64 v[120:121], v[130:131], s[4:5], v[120:121]
	v_add_f64 v[164:165], v[114:115], v[110:111]
	ds_write_b128 v195, v[136:139] offset:64
	v_fma_f64 v[136:137], v[126:127], -0.5, v[64:65]
	v_fma_f64 v[126:127], v[122:123], s[16:17], v[124:125]
	v_fma_f64 v[128:129], v[122:123], s[16:17], v[20:21]
	v_add_f64 v[122:123], v[134:135], v[132:133]
	v_add_f64 v[132:133], v[72:73], -v[116:117]
	v_fma_f64 v[20:21], v[162:163], s[10:11], v[120:121]
	v_fma_f64 v[120:121], v[164:165], -0.5, v[66:67]
	v_add_f64 v[138:139], v[108:109], -v[72:73]
	v_add_f64 v[164:165], v[112:113], -v[116:117]
	v_fma_f64 v[124:125], v[162:163], s[6:7], v[160:161]
	v_fma_f64 v[134:135], v[162:163], s[4:5], v[136:137]
	v_add_f64 v[160:161], v[118:119], v[74:75]
	v_fma_f64 v[136:137], v[162:163], s[0:1], v[136:137]
	v_add_f64 v[162:163], v[74:75], -v[110:111]
	v_add_f64 v[166:167], v[118:119], -v[114:115]
	v_fma_f64 v[168:169], v[132:133], s[4:5], v[120:121]
	v_add_f64 v[186:187], v[108:109], -v[112:113]
	v_fma_f64 v[120:121], v[132:133], s[0:1], v[120:121]
	v_add_f64 v[138:139], v[164:165], v[138:139]
	v_add_f64 v[164:165], v[24:25], v[16:17]
	;; [unrolled: 1-line block ×3, first 2 shown]
	v_fma_f64 v[160:161], v[160:161], -0.5, v[66:67]
	v_fma_f64 v[196:197], v[130:131], s[6:7], v[134:135]
	v_add_f64 v[72:73], v[166:167], v[162:163]
	v_fma_f64 v[134:135], v[186:187], s[10:11], v[168:169]
	v_fma_f64 v[120:121], v[186:187], s[6:7], v[120:121]
	;; [unrolled: 1-line block ×3, first 2 shown]
	v_add_f64 v[164:165], v[68:69], v[164:165]
	v_add_f64 v[64:65], v[108:109], v[64:65]
	v_fma_f64 v[188:189], v[122:123], s[16:17], v[124:125]
	v_fma_f64 v[162:163], v[186:187], s[0:1], v[160:161]
	;; [unrolled: 1-line block ×3, first 2 shown]
	v_add_f64 v[108:109], v[110:111], -v[74:75]
	v_add_f64 v[122:123], v[114:115], -v[118:119]
	v_fma_f64 v[186:187], v[72:73], s[16:17], v[134:135]
	v_fma_f64 v[190:191], v[72:73], s[16:17], v[120:121]
	v_add_f64 v[72:73], v[80:81], v[164:165]
	v_mul_f64 v[120:121], v[20:21], s[2:3]
	v_add_f64 v[64:65], v[112:113], v[64:65]
	v_mul_f64 v[112:113], v[188:189], s[2:3]
	v_fma_f64 v[124:125], v[130:131], s[10:11], v[136:137]
	v_add_f64 v[108:109], v[122:123], v[108:109]
	v_fma_f64 v[122:123], v[132:133], s[10:11], v[162:163]
	v_fma_f64 v[136:137], v[132:133], s[6:7], v[160:161]
	v_add_f64 v[130:131], v[84:85], v[72:73]
	v_fma_f64 v[134:135], v[190:191], s[6:7], -v[120:121]
	v_add_f64 v[116:117], v[116:117], v[64:65]
	v_fma_f64 v[132:133], v[186:187], s[6:7], v[112:113]
	v_fma_f64 v[112:113], v[138:139], s[16:17], v[196:197]
	;; [unrolled: 1-line block ×5, first 2 shown]
	v_mul_i32_i24_e32 v160, 10, v193
	v_add_f64 v[120:121], v[128:129], v[134:135]
	v_add_f64 v[122:123], v[130:131], -v[116:117]
	v_add_f64 v[124:125], v[126:127], -v[132:133]
	v_lshl_add_u32 v196, v160, 3, 0
	v_cmp_gt_u32_e64 s[2:3], 45, v192
	ds_write_b128 v196, v[140:143]
	ds_write_b128 v196, v[148:151] offset:16
	ds_write_b128 v196, v[152:155] offset:32
	;; [unrolled: 1-line block ×4, first 2 shown]
	s_and_saveexec_b64 s[18:19], s[2:3]
	s_cbranch_execz .LBB0_17
; %bb.16:
	v_add_f64 v[136:137], v[84:85], v[24:25]
	v_add_f64 v[138:139], v[80:81], -v[84:85]
	v_mul_f64 v[142:143], v[112:113], s[16:17]
	v_add_f64 v[134:135], v[128:129], -v[134:135]
	v_fma_f64 v[16:17], v[136:137], -0.5, v[16:17]
	v_add_f64 v[136:137], v[68:69], -v[24:25]
	v_fma_f64 v[140:141], v[56:57], s[0:1], v[16:17]
	v_fma_f64 v[16:17], v[56:57], s[4:5], v[16:17]
	v_mul_f64 v[56:57], v[64:65], s[16:17]
	v_add_f64 v[136:137], v[138:139], v[136:137]
	v_fma_f64 v[138:139], v[52:53], s[10:11], v[140:141]
	v_fma_f64 v[16:17], v[52:53], s[6:7], v[16:17]
	v_fma_f64 v[52:53], v[108:109], s[0:1], -v[56:57]
	v_fma_f64 v[56:57], v[72:73], s[0:1], v[142:143]
	v_fma_f64 v[140:141], v[136:137], s[16:17], v[138:139]
	;; [unrolled: 1-line block ×3, first 2 shown]
	v_add_f64 v[138:139], v[126:127], v[132:133]
	v_add_f64 v[136:137], v[116:117], v[130:131]
	;; [unrolled: 1-line block ×4, first 2 shown]
	v_add_f64 v[126:127], v[16:17], -v[56:57]
	v_add_f64 v[132:133], v[140:141], -v[52:53]
	ds_write_b128 v195, v[120:123] offset:14432
	ds_write_b128 v195, v[136:139] offset:14400
	;; [unrolled: 1-line block ×5, first 2 shown]
.LBB0_17:
	s_or_b64 exec, exec, s[18:19]
	s_movk_i32 s0, 0xffb8
	v_mad_i32_i24 v194, v192, s0, v195
	v_add_u32_e32 v17, 0x1800, v194
	s_waitcnt lgkmcnt(0)
	s_barrier
	ds_read2_b64 v[166:169], v17 offset0:72 offset1:162
	v_add_u32_e32 v17, 0x3000, v194
	ds_read2_b64 v[162:165], v17 offset0:54 offset1:144
	v_add_u32_e32 v17, 0x800, v194
	;; [unrolled: 2-line block ×5, first 2 shown]
	v_add_u32_e32 v16, 0x1000, v194
	ds_read2_b64 v[130:133], v17 offset0:66 offset1:156
	v_add_u32_e32 v17, 0x2400, v194
	ds_read2_b64 v[126:129], v16 offset0:118 offset1:238
	;; [unrolled: 2-line block ×3, first 2 shown]
	v_add_u32_e32 v17, 0x3800, v194
	ds_read2_b64 v[138:141], v194 offset1:180
	ds_read2_b64 v[142:145], v16 offset0:100 offset1:220
	v_mad_i32_i24 v16, v193, s0, v196
	ds_read2_b64 v[146:149], v17 offset0:158 offset1:248
	ds_read_b64 v[52:53], v16
	ds_read_b64 v[56:57], v194 offset:17040
	v_cmp_gt_u32_e64 s[0:1], 30, v192
	s_and_saveexec_b64 s[4:5], s[0:1]
	s_cbranch_execz .LBB0_19
; %bb.18:
	ds_read_b64 v[120:121], v194 offset:5760
	ds_read_b64 v[122:123], v194 offset:11760
	;; [unrolled: 1-line block ×3, first 2 shown]
.LBB0_19:
	s_or_b64 exec, exec, s[4:5]
	v_add_f64 v[16:17], v[106:107], v[102:103]
	v_add_f64 v[12:13], v[12:13], -v[96:97]
	v_add_f64 v[96:97], v[98:99], v[14:15]
	v_add_f64 v[197:198], v[14:15], v[6:7]
	v_add_f64 v[100:101], v[100:101], -v[104:105]
	v_add_f64 v[2:3], v[10:11], v[2:3]
	s_mov_b32 s4, 0x134454ff
	s_mov_b32 s5, 0xbfee6f0e
	v_fma_f64 v[16:17], v[16:17], -0.5, v[6:7]
	s_mov_b32 s17, 0x3fee6f0e
	v_fma_f64 v[6:7], v[96:97], -0.5, v[6:7]
	s_mov_b32 s16, s4
	v_add_f64 v[104:105], v[14:15], -v[102:103]
	v_add_f64 v[199:200], v[98:99], -v[106:107]
	v_add_f64 v[96:97], v[102:103], v[197:198]
	v_add_f64 v[2:3], v[90:91], v[2:3]
	v_fma_f64 v[197:198], v[12:13], s[4:5], v[16:17]
	s_mov_b32 s6, 0x4755a5e
	v_fma_f64 v[10:11], v[100:101], s[16:17], v[6:7]
	v_fma_f64 v[6:7], v[100:101], s[4:5], v[6:7]
	s_mov_b32 s10, 0x372fe950
	s_mov_b32 s7, 0xbfe2cf23
	;; [unrolled: 1-line block ×5, first 2 shown]
	v_add_f64 v[14:15], v[102:103], -v[14:15]
	v_add_f64 v[102:103], v[106:107], -v[98:99]
	v_add_f64 v[104:105], v[199:200], v[104:105]
	v_add_f64 v[96:97], v[106:107], v[96:97]
	v_fma_f64 v[106:107], v[100:101], s[6:7], v[197:198]
	v_fma_f64 v[16:17], v[12:13], s[16:17], v[16:17]
	;; [unrolled: 1-line block ×3, first 2 shown]
	v_add_f64 v[2:3], v[94:95], v[2:3]
	v_mul_f64 v[90:91], v[174:175], s[6:7]
	v_mul_f64 v[94:95], v[172:173], s[4:5]
	v_fma_f64 v[6:7], v[12:13], s[18:19], v[6:7]
	v_mul_f64 v[12:13], v[176:177], s[10:11]
	s_mov_b32 s20, 0x9b97f4a8
	s_mov_b32 s21, 0x3fe9e377
	v_add_f64 v[14:15], v[102:103], v[14:15]
	v_add_f64 v[98:99], v[98:99], v[96:97]
	v_fma_f64 v[102:103], v[104:105], s[10:11], v[106:107]
	v_fma_f64 v[16:17], v[100:101], s[18:19], v[16:17]
	v_mul_f64 v[88:89], v[88:89], s[20:21]
	v_add_f64 v[2:3], v[78:79], v[2:3]
	v_fma_f64 v[8:9], v[8:9], s[20:21], v[90:91]
	v_fma_f64 v[78:79], v[92:93], s[10:11], v[94:95]
	v_add_f64 v[94:95], v[38:39], v[46:47]
	v_fma_f64 v[4:5], v[4:5], s[4:5], -v[12:13]
	v_add_f64 v[12:13], v[42:43], v[54:55]
	v_fma_f64 v[10:11], v[14:15], s[10:11], v[10:11]
	v_fma_f64 v[16:17], v[104:105], s[10:11], v[16:17]
	;; [unrolled: 1-line block ×3, first 2 shown]
	v_fma_f64 v[0:1], v[0:1], s[6:7], -v[88:89]
	v_add_f64 v[88:89], v[2:3], v[98:99]
	v_add_f64 v[90:91], v[102:103], v[8:9]
	v_fma_f64 v[14:15], v[94:95], -0.5, v[54:55]
	v_add_f64 v[32:33], v[40:41], -v[32:33]
	v_add_f64 v[98:99], v[98:99], -v[2:3]
	v_add_f64 v[2:3], v[34:35], v[42:43]
	v_add_f64 v[100:101], v[102:103], -v[8:9]
	v_add_f64 v[8:9], v[46:47], v[12:13]
	v_add_f64 v[92:93], v[10:11], v[78:79]
	;; [unrolled: 1-line block ×4, first 2 shown]
	v_add_f64 v[102:103], v[10:11], -v[78:79]
	v_fma_f64 v[10:11], v[32:33], s[4:5], v[14:15]
	v_add_f64 v[12:13], v[44:45], -v[36:37]
	v_add_f64 v[104:105], v[6:7], -v[4:5]
	v_add_f64 v[4:5], v[62:63], v[58:59]
	v_fma_f64 v[2:3], v[2:3], -0.5, v[54:55]
	v_add_f64 v[106:107], v[16:17], -v[0:1]
	v_add_f64 v[0:1], v[38:39], v[8:9]
	v_add_f64 v[6:7], v[42:43], -v[46:47]
	v_add_f64 v[8:9], v[34:35], -v[38:39]
	v_fma_f64 v[10:11], v[12:13], s[6:7], v[10:11]
	v_fma_f64 v[14:15], v[32:33], s[16:17], v[14:15]
	v_add_f64 v[4:5], v[50:51], v[4:5]
	v_fma_f64 v[16:17], v[12:13], s[16:17], v[2:3]
	v_add_f64 v[36:37], v[46:47], -v[42:43]
	v_add_f64 v[38:39], v[38:39], -v[34:35]
	v_fma_f64 v[2:3], v[12:13], s[4:5], v[2:3]
	v_add_f64 v[6:7], v[8:9], v[6:7]
	v_mul_f64 v[58:59], v[190:191], s[20:21]
	v_fma_f64 v[8:9], v[12:13], s[18:19], v[14:15]
	v_add_f64 v[4:5], v[30:31], v[4:5]
	v_fma_f64 v[14:15], v[32:33], s[6:7], v[16:17]
	v_mul_f64 v[12:13], v[184:185], s[6:7]
	v_add_f64 v[16:17], v[38:39], v[36:37]
	v_fma_f64 v[2:3], v[32:33], s[18:19], v[2:3]
	v_fma_f64 v[42:43], v[6:7], s[10:11], v[10:11]
	v_add_f64 v[10:11], v[82:83], v[70:71]
	v_fma_f64 v[50:51], v[6:7], s[10:11], v[8:9]
	v_add_f64 v[40:41], v[22:23], v[4:5]
	v_mul_f64 v[6:7], v[178:179], s[4:5]
	v_add_f64 v[8:9], v[26:27], v[18:19]
	v_fma_f64 v[46:47], v[16:17], s[10:11], v[14:15]
	v_fma_f64 v[2:3], v[16:17], s[10:11], v[2:3]
	v_add_f64 v[4:5], v[24:25], -v[84:85]
	v_fma_f64 v[10:11], v[10:11], -0.5, v[18:19]
	v_add_f64 v[16:17], v[74:75], v[66:67]
	v_add_f64 v[14:15], v[68:69], -v[80:81]
	v_fma_f64 v[24:25], v[28:29], s[10:11], v[6:7]
	v_mul_f64 v[6:7], v[182:183], s[10:11]
	v_add_f64 v[8:9], v[70:71], v[8:9]
	v_add_f64 v[28:29], v[26:27], -v[70:71]
	v_add_f64 v[36:37], v[86:87], -v[82:83]
	v_fma_f64 v[22:23], v[4:5], s[4:5], v[10:11]
	v_fma_f64 v[10:11], v[4:5], s[16:17], v[10:11]
	v_add_f64 v[16:17], v[110:111], v[16:17]
	v_fma_f64 v[44:45], v[180:181], s[20:21], v[12:13]
	v_mul_f64 v[12:13], v[76:77], s[20:21]
	v_fma_f64 v[54:55], v[60:61], s[4:5], -v[6:7]
	v_add_f64 v[6:7], v[82:83], v[8:9]
	v_mul_f64 v[60:61], v[188:189], s[6:7]
	v_fma_f64 v[8:9], v[14:15], s[6:7], v[22:23]
	v_add_f64 v[22:23], v[36:37], v[28:29]
	v_fma_f64 v[28:29], v[14:15], s[18:19], v[10:11]
	v_add_f64 v[16:17], v[114:115], v[16:17]
	v_add_f64 v[0:1], v[34:35], v[0:1]
	v_fma_f64 v[48:49], v[48:49], s[6:7], -v[12:13]
	v_add_f64 v[10:11], v[86:87], v[6:7]
	v_add_f64 v[32:33], v[42:43], v[44:45]
	;; [unrolled: 1-line block ×3, first 2 shown]
	v_fma_f64 v[12:13], v[22:23], s[10:11], v[8:9]
	v_fma_f64 v[6:7], v[22:23], s[10:11], v[28:29]
	v_fma_f64 v[8:9], v[20:21], s[6:7], -v[58:59]
	v_add_f64 v[16:17], v[118:119], v[16:17]
	v_fma_f64 v[22:23], v[186:187], s[20:21], v[60:61]
	v_add_f64 v[30:31], v[40:41], v[0:1]
	v_add_f64 v[36:37], v[2:3], v[54:55]
	v_add_f64 v[40:41], v[0:1], -v[40:41]
	v_add_f64 v[42:43], v[42:43], -v[44:45]
	;; [unrolled: 1-line block ×4, first 2 shown]
	v_add_f64 v[0:1], v[6:7], v[8:9]
	v_add_f64 v[2:3], v[10:11], -v[16:17]
	v_add_f64 v[20:21], v[12:13], -v[22:23]
	v_mul_i32_i24_e32 v116, 0xffffffb8, v193
	v_add_f64 v[38:39], v[50:51], v[48:49]
	v_add_u32_e32 v172, 0xb4, v192
	v_add_f64 v[48:49], v[50:51], -v[48:49]
	s_waitcnt lgkmcnt(0)
	s_barrier
	ds_write_b128 v195, v[88:91]
	ds_write_b128 v195, v[92:95] offset:16
	ds_write_b128 v195, v[96:99] offset:32
	;; [unrolled: 1-line block ×4, first 2 shown]
	ds_write_b128 v196, v[30:33]
	ds_write_b128 v196, v[34:37] offset:16
	ds_write_b128 v196, v[38:41] offset:32
	;; [unrolled: 1-line block ×4, first 2 shown]
	s_and_saveexec_b64 s[20:21], s[2:3]
	s_cbranch_execz .LBB0_21
; %bb.20:
	v_add_f64 v[24:25], v[86:87], v[26:27]
	v_mul_f64 v[30:31], v[108:109], s[10:11]
	v_add_f64 v[10:11], v[16:17], v[10:11]
	v_add_f64 v[12:13], v[12:13], v[22:23]
	v_add_f64 v[6:7], v[6:7], -v[8:9]
	v_mul_u32_u24_e32 v8, 10, v172
	v_lshl_add_u32 v8, v8, 3, 0
	v_fma_f64 v[18:19], v[24:25], -0.5, v[18:19]
	v_add_f64 v[24:25], v[70:71], -v[26:27]
	v_add_f64 v[26:27], v[82:83], -v[86:87]
	v_fma_f64 v[28:29], v[14:15], s[16:17], v[18:19]
	v_fma_f64 v[14:15], v[14:15], s[4:5], v[18:19]
	v_mul_f64 v[18:19], v[112:113], s[4:5]
	v_add_f64 v[24:25], v[26:27], v[24:25]
	v_fma_f64 v[26:27], v[4:5], s[6:7], v[28:29]
	v_fma_f64 v[4:5], v[4:5], s[18:19], v[14:15]
	;; [unrolled: 1-line block ×3, first 2 shown]
	v_fma_f64 v[28:29], v[64:65], s[4:5], -v[30:31]
	v_fma_f64 v[26:27], v[24:25], s[10:11], v[26:27]
	v_fma_f64 v[4:5], v[24:25], s[10:11], v[4:5]
	v_add_f64 v[14:15], v[26:27], v[18:19]
	v_add_f64 v[16:17], v[4:5], v[28:29]
	v_add_f64 v[22:23], v[26:27], -v[18:19]
	v_add_f64 v[4:5], v[4:5], -v[28:29]
	ds_write_b128 v8, v[0:3] offset:32
	ds_write_b128 v8, v[10:13]
	ds_write_b128 v8, v[14:17] offset:16
	ds_write_b128 v8, v[20:23] offset:48
	;; [unrolled: 1-line block ×3, first 2 shown]
.LBB0_21:
	s_or_b64 exec, exec, s[20:21]
	v_add_u32_e32 v8, 0x2800, v194
	s_waitcnt lgkmcnt(0)
	s_barrier
	ds_read2_b64 v[22:25], v8 offset0:100 offset1:220
	v_add_u32_e32 v8, 0x1800, v194
	ds_read2_b64 v[46:49], v8 offset0:72 offset1:162
	v_add_u32_e32 v8, 0x3000, v194
	;; [unrolled: 2-line block ×5, first 2 shown]
	v_add_u32_e32 v26, 0x2400, v194
	v_add_u32_e32 v4, 0x1000, v194
	ds_read2_b64 v[34:37], v8 offset0:106 offset1:196
	v_add_u32_e32 v8, 0xc00, v194
	ds_read2_b64 v[30:33], v26 offset0:48 offset1:138
	v_add_u32_e32 v26, 0x3800, v194
	ds_read2_b64 v[16:19], v194 offset1:180
	ds_read2_b64 v[4:7], v4 offset0:118 offset1:238
	v_add_u32_e32 v177, v196, v116
	ds_read2_b64 v[8:11], v8 offset0:66 offset1:156
	ds_read2_b64 v[26:29], v26 offset0:158 offset1:248
	ds_read_b64 v[50:51], v177
	ds_read_b64 v[54:55], v194 offset:17040
	s_and_saveexec_b64 s[2:3], s[0:1]
	s_cbranch_execz .LBB0_23
; %bb.22:
	ds_read_b64 v[0:1], v194 offset:5760
	ds_read_b64 v[2:3], v194 offset:11760
	;; [unrolled: 1-line block ×3, first 2 shown]
.LBB0_23:
	s_or_b64 exec, exec, s[2:3]
	s_movk_i32 s2, 0xcd
	v_mul_lo_u16_sdwa v58, v192, s2 dst_sel:DWORD dst_unused:UNUSED_PAD src0_sel:BYTE_0 src1_sel:DWORD
	v_lshrrev_b16_e32 v215, 11, v58
	v_mul_lo_u16_e32 v58, 10, v215
	v_sub_u16_e32 v216, v192, v58
	v_mov_b32_e32 v66, 5
	v_lshlrev_b32_sdwa v67, v66, v216 dst_sel:DWORD dst_unused:UNUSED_PAD src0_sel:DWORD src1_sel:BYTE_0
	global_load_dwordx4 v[58:61], v67, s[8:9] offset:16
	global_load_dwordx4 v[62:65], v67, s[8:9]
	v_mul_lo_u16_sdwa v67, v193, s2 dst_sel:DWORD dst_unused:UNUSED_PAD src0_sel:BYTE_0 src1_sel:DWORD
	v_lshrrev_b16_e32 v217, 11, v67
	v_mul_lo_u16_e32 v67, 10, v217
	v_sub_u16_e32 v218, v193, v67
	v_lshlrev_b32_sdwa v66, v66, v218 dst_sel:DWORD dst_unused:UNUSED_PAD src0_sel:DWORD src1_sel:BYTE_0
	s_mov_b32 s2, 0xcccd
	global_load_dwordx4 v[68:71], v66, s[8:9] offset:16
	global_load_dwordx4 v[72:75], v66, s[8:9]
	v_mul_u32_u24_sdwa v66, v172, s2 dst_sel:DWORD dst_unused:UNUSED_PAD src0_sel:WORD_0 src1_sel:DWORD
	v_lshrrev_b32_e32 v219, 19, v66
	v_mul_lo_u16_e32 v66, 10, v219
	v_sub_u16_e32 v220, v172, v66
	v_add_u32_e32 v173, 0x10e, v192
	v_lshlrev_b32_e32 v66, 5, v220
	global_load_dwordx4 v[88:91], v66, s[8:9] offset:16
	global_load_dwordx4 v[78:81], v66, s[8:9]
	v_mul_u32_u24_sdwa v66, v173, s2 dst_sel:DWORD dst_unused:UNUSED_PAD src0_sel:WORD_0 src1_sel:DWORD
	v_lshrrev_b32_e32 v221, 19, v66
	v_mul_lo_u16_e32 v66, 10, v221
	v_sub_u16_e32 v222, v173, v66
	v_lshlrev_b32_e32 v66, 5, v222
	v_add_u32_e32 v174, 0x168, v192
	global_load_dwordx4 v[98:101], v66, s[8:9]
	global_load_dwordx4 v[102:105], v66, s[8:9] offset:16
	v_mul_u32_u24_sdwa v66, v174, s2 dst_sel:DWORD dst_unused:UNUSED_PAD src0_sel:WORD_0 src1_sel:DWORD
	v_lshrrev_b32_e32 v223, 19, v66
	v_mul_lo_u16_e32 v66, 10, v223
	v_sub_u16_e32 v224, v174, v66
	v_add_u32_e32 v176, 0x1c2, v192
	v_lshlrev_b32_e32 v66, 5, v224
	global_load_dwordx4 v[106:109], v66, s[8:9] offset:16
	global_load_dwordx4 v[110:113], v66, s[8:9]
	v_mul_u32_u24_sdwa v66, v176, s2 dst_sel:DWORD dst_unused:UNUSED_PAD src0_sel:WORD_0 src1_sel:DWORD
	v_lshrrev_b32_e32 v225, 19, v66
	v_mul_lo_u16_e32 v66, 10, v225
	v_sub_u16_e32 v226, v176, v66
	v_lshlrev_b32_e32 v66, 5, v226
	global_load_dwordx4 v[114:117], v66, s[8:9]
	global_load_dwordx4 v[180:183], v66, s[8:9] offset:16
	v_add_u32_e32 v175, 0x21c, v192
	v_mul_u32_u24_sdwa v66, v175, s2 dst_sel:DWORD dst_unused:UNUSED_PAD src0_sel:WORD_0 src1_sel:DWORD
	v_lshrrev_b32_e32 v227, 19, v66
	v_mul_lo_u16_e32 v66, 10, v227
	v_sub_u16_e32 v228, v175, v66
	v_lshlrev_b32_e32 v66, 5, v228
	global_load_dwordx4 v[184:187], v66, s[8:9] offset:16
	global_load_dwordx4 v[188:191], v66, s[8:9]
	v_add_u32_e32 v178, 0x276, v192
	v_mul_u32_u24_sdwa v66, v178, s2 dst_sel:DWORD dst_unused:UNUSED_PAD src0_sel:WORD_0 src1_sel:DWORD
	v_lshrrev_b32_e32 v229, 19, v66
	v_mul_lo_u16_e32 v66, 10, v229
	v_sub_u16_e32 v230, v178, v66
	v_lshlrev_b32_e32 v66, 5, v230
	global_load_dwordx4 v[195:198], v66, s[8:9]
	global_load_dwordx4 v[199:202], v66, s[8:9] offset:16
	v_add_u32_e32 v179, 0x2d0, v192
	v_mul_u32_u24_sdwa v66, v179, s2 dst_sel:DWORD dst_unused:UNUSED_PAD src0_sel:WORD_0 src1_sel:DWORD
	v_lshrrev_b32_e32 v231, 19, v66
	v_mul_lo_u16_e32 v66, 10, v231
	v_sub_u16_e32 v232, v179, v66
	v_lshlrev_b32_e32 v66, 5, v232
	global_load_dwordx4 v[203:206], v66, s[8:9]
	global_load_dwordx4 v[207:210], v66, s[8:9] offset:16
	s_mov_b32 s2, 0xe8584caa
	s_mov_b32 s3, 0x3febb67a
	;; [unrolled: 1-line block ×4, first 2 shown]
	s_waitcnt vmcnt(0) lgkmcnt(0)
	s_barrier
	v_mul_f64 v[76:77], v[24:25], v[60:61]
	v_mul_f64 v[66:67], v[6:7], v[64:65]
	;; [unrolled: 1-line block ×8, first 2 shown]
	v_fma_f64 v[82:83], v[128:129], v[62:63], -v[66:67]
	v_fma_f64 v[66:67], v[24:25], v[58:59], v[60:61]
	v_fma_f64 v[86:87], v[6:7], v[62:63], v[64:65]
	v_mul_f64 v[211:212], v[44:45], v[90:91]
	v_mul_f64 v[90:91], v[164:165], v[90:91]
	v_fma_f64 v[84:85], v[166:167], v[72:73], -v[84:85]
	v_fma_f64 v[96:97], v[46:47], v[72:73], v[74:75]
	v_fma_f64 v[94:95], v[162:163], v[68:69], -v[94:95]
	v_fma_f64 v[70:71], v[42:43], v[68:69], v[70:71]
	v_mul_f64 v[118:119], v[48:49], v[80:81]
	v_mul_f64 v[213:214], v[38:39], v[100:101]
	;; [unrolled: 1-line block ×5, first 2 shown]
	v_fma_f64 v[68:69], v[44:45], v[88:89], v[90:91]
	v_mul_f64 v[80:81], v[168:169], v[80:81]
	v_fma_f64 v[92:93], v[144:145], v[58:59], -v[76:77]
	v_mul_f64 v[60:61], v[156:157], v[108:109]
	v_fma_f64 v[76:77], v[168:169], v[78:79], -v[118:119]
	v_fma_f64 v[72:73], v[38:39], v[98:99], v[100:101]
	v_mul_f64 v[38:39], v[40:41], v[112:113]
	v_fma_f64 v[44:45], v[34:35], v[102:103], v[24:25]
	v_fma_f64 v[64:65], v[154:155], v[102:103], -v[6:7]
	v_mul_f64 v[24:25], v[150:151], v[116:117]
	v_mul_f64 v[6:7], v[36:37], v[108:109]
	;; [unrolled: 1-line block ×3, first 2 shown]
	v_fma_f64 v[80:81], v[48:49], v[78:79], v[80:81]
	v_fma_f64 v[78:79], v[164:165], v[88:89], -v[211:212]
	v_fma_f64 v[42:43], v[160:161], v[110:111], -v[38:39]
	v_fma_f64 v[38:39], v[36:37], v[106:107], v[60:61]
	v_mul_f64 v[48:49], v[160:161], v[112:113]
	v_fma_f64 v[60:61], v[30:31], v[114:115], v[24:25]
	v_mul_f64 v[30:31], v[152:153], v[190:191]
	v_mul_f64 v[34:35], v[26:27], v[182:183]
	v_fma_f64 v[58:59], v[156:157], v[106:107], -v[6:7]
	v_mul_f64 v[6:7], v[146:147], v[182:183]
	v_mul_f64 v[24:25], v[32:33], v[190:191]
	;; [unrolled: 1-line block ×5, first 2 shown]
	v_fma_f64 v[32:33], v[32:33], v[188:189], v[30:31]
	v_mul_f64 v[30:31], v[54:55], v[201:202]
	v_fma_f64 v[48:49], v[40:41], v[110:111], v[48:49]
	v_fma_f64 v[40:41], v[150:151], v[114:115], -v[62:63]
	v_fma_f64 v[62:63], v[146:147], v[180:181], -v[34:35]
	v_mul_f64 v[34:35], v[28:29], v[186:187]
	v_fma_f64 v[36:37], v[26:27], v[180:181], v[6:7]
	v_fma_f64 v[6:7], v[28:29], v[184:185], v[74:75]
	v_fma_f64 v[26:27], v[142:143], v[195:196], -v[88:89]
	v_mul_f64 v[28:29], v[56:57], v[201:202]
	v_fma_f64 v[22:23], v[22:23], v[195:196], v[90:91]
	v_add_f64 v[88:89], v[82:83], v[92:93]
	v_fma_f64 v[56:57], v[56:57], v[199:200], -v[30:31]
	v_mul_f64 v[30:31], v[122:123], v[205:206]
	v_mul_f64 v[90:91], v[20:21], v[209:210]
	v_fma_f64 v[46:47], v[158:159], v[98:99], -v[213:214]
	v_mul_f64 v[74:75], v[2:3], v[205:206]
	v_mul_f64 v[98:99], v[124:125], v[209:210]
	v_fma_f64 v[54:55], v[54:55], v[199:200], v[28:29]
	v_add_f64 v[100:101], v[138:139], v[82:83]
	v_fma_f64 v[88:89], v[88:89], -0.5, v[138:139]
	v_add_f64 v[102:103], v[86:87], -v[66:67]
	v_fma_f64 v[28:29], v[2:3], v[203:204], v[30:31]
	v_fma_f64 v[2:3], v[124:125], v[207:208], -v[90:91]
	v_add_f64 v[90:91], v[52:53], v[84:85]
	v_fma_f64 v[30:31], v[20:21], v[207:208], v[98:99]
	v_add_f64 v[20:21], v[84:85], v[94:95]
	v_add_f64 v[99:100], v[100:101], v[92:93]
	;; [unrolled: 1-line block ×3, first 2 shown]
	v_fma_f64 v[104:105], v[102:103], s[2:3], v[88:89]
	v_fma_f64 v[101:102], v[102:103], s[4:5], v[88:89]
	v_add_f64 v[88:89], v[140:141], v[76:77]
	v_add_f64 v[108:109], v[90:91], v[94:95]
	v_add_f64 v[90:91], v[46:47], v[64:65]
	v_add_f64 v[116:117], v[72:73], -v[44:45]
	v_fma_f64 v[24:25], v[152:153], v[188:189], -v[24:25]
	v_fma_f64 v[34:35], v[148:149], v[184:185], -v[34:35]
	;; [unrolled: 1-line block ×3, first 2 shown]
	v_fma_f64 v[20:21], v[20:21], -0.5, v[52:53]
	v_add_f64 v[114:115], v[88:89], v[78:79]
	v_add_f64 v[88:89], v[42:43], v[58:59]
	v_fma_f64 v[90:91], v[90:91], -0.5, v[134:135]
	v_add_f64 v[52:53], v[96:97], -v[70:71]
	v_fma_f64 v[106:107], v[106:107], -0.5, v[140:141]
	v_add_f64 v[110:111], v[80:81], -v[68:69]
	v_add_f64 v[124:125], v[48:49], -v[38:39]
	v_add_f64 v[122:123], v[136:137], v[42:43]
	v_add_f64 v[142:143], v[132:133], v[24:25]
	v_fma_f64 v[88:89], v[88:89], -0.5, v[136:137]
	v_fma_f64 v[128:129], v[116:117], s[2:3], v[90:91]
	v_fma_f64 v[116:117], v[116:117], s[4:5], v[90:91]
	v_add_f64 v[90:91], v[130:131], v[40:41]
	v_fma_f64 v[112:113], v[52:53], s[2:3], v[20:21]
	v_fma_f64 v[20:21], v[52:53], s[4:5], v[20:21]
	v_add_f64 v[52:53], v[134:135], v[46:47]
	;; [unrolled: 3-line block ×3, first 2 shown]
	v_add_f64 v[134:135], v[24:25], v[34:35]
	v_fma_f64 v[136:137], v[124:125], s[2:3], v[88:89]
	v_fma_f64 v[124:125], v[124:125], s[4:5], v[88:89]
	v_add_f64 v[88:89], v[26:27], v[56:57]
	v_add_f64 v[138:139], v[90:91], v[62:63]
	;; [unrolled: 1-line block ×4, first 2 shown]
	v_fma_f64 v[110:111], v[110:111], -0.5, v[130:131]
	v_add_f64 v[130:131], v[60:61], -v[36:37]
	v_fma_f64 v[132:133], v[134:135], -0.5, v[132:133]
	v_add_f64 v[134:135], v[32:33], -v[6:7]
	;; [unrolled: 2-line block ×4, first 2 shown]
	v_mov_b32_e32 v103, 3
	v_fma_f64 v[140:141], v[130:131], s[2:3], v[110:111]
	v_fma_f64 v[110:111], v[130:131], s[4:5], v[110:111]
	v_add_f64 v[130:131], v[142:143], v[34:35]
	v_fma_f64 v[142:143], v[134:135], s[2:3], v[132:133]
	v_fma_f64 v[132:133], v[134:135], s[4:5], v[132:133]
	v_add_f64 v[134:135], v[144:145], v[56:57]
	v_fma_f64 v[144:145], v[126:127], s[2:3], v[88:89]
	v_fma_f64 v[126:127], v[126:127], s[4:5], v[88:89]
	;; [unrolled: 1-line block ×4, first 2 shown]
	v_mul_u32_u24_e32 v98, 0xf0, v215
	v_lshlrev_b32_sdwa v146, v103, v216 dst_sel:DWORD dst_unused:UNUSED_PAD src0_sel:DWORD src1_sel:BYTE_0
	v_add_f64 v[52:53], v[52:53], v[64:65]
	v_add_f64 v[122:123], v[122:123], v[58:59]
	v_add3_u32 v98, 0, v98, v146
	ds_write2_b64 v98, v[99:100], v[104:105] offset1:10
	ds_write_b64 v98, v[101:102] offset:160
	v_mul_u32_u24_e32 v99, 0xf0, v217
	v_lshlrev_b32_sdwa v100, v103, v218 dst_sel:DWORD dst_unused:UNUSED_PAD src0_sel:DWORD src1_sel:BYTE_0
	v_add3_u32 v99, 0, v99, v100
	ds_write2_b64 v99, v[108:109], v[112:113] offset1:10
	ds_write_b64 v99, v[20:21] offset:160
	v_mul_u32_u24_e32 v20, 0xf0, v219
	v_lshlrev_b32_e32 v21, 3, v220
	v_add3_u32 v104, 0, v20, v21
	v_mul_u32_u24_e32 v20, 0xf0, v221
	v_lshlrev_b32_e32 v21, 3, v222
	v_add3_u32 v105, 0, v20, v21
	v_mul_u32_u24_e32 v20, 0xf0, v223
	v_lshlrev_b32_e32 v21, 3, v224
	ds_write2_b64 v104, v[114:115], v[118:119] offset1:10
	ds_write_b64 v104, v[106:107] offset:160
	v_add3_u32 v106, 0, v20, v21
	v_mul_u32_u24_e32 v20, 0xf0, v225
	v_lshlrev_b32_e32 v21, 3, v226
	v_add3_u32 v107, 0, v20, v21
	v_mul_u32_u24_e32 v20, 0xf0, v227
	v_lshlrev_b32_e32 v21, 3, v228
	ds_write2_b64 v105, v[52:53], v[128:129] offset1:10
	ds_write_b64 v105, v[116:117] offset:160
	ds_write2_b64 v106, v[122:123], v[136:137] offset1:10
	ds_write_b64 v106, v[124:125] offset:160
	;; [unrolled: 2-line block ×3, first 2 shown]
	v_add3_u32 v110, 0, v20, v21
	v_mul_u32_u24_e32 v20, 0xf0, v229
	v_lshlrev_b32_e32 v21, 3, v230
	v_add3_u32 v111, 0, v20, v21
	v_mul_lo_u16_e32 v108, 30, v231
	v_lshlrev_b32_e32 v109, 3, v232
	ds_write2_b64 v110, v[130:131], v[142:143] offset1:10
	ds_write_b64 v110, v[132:133] offset:160
	ds_write2_b64 v111, v[134:135], v[144:145] offset1:10
	ds_write_b64 v111, v[126:127] offset:160
	s_and_saveexec_b64 s[6:7], s[0:1]
	s_cbranch_execz .LBB0_25
; %bb.24:
	v_add_f64 v[20:21], v[120:121], v[74:75]
	v_lshlrev_b32_e32 v52, 3, v108
	v_add3_u32 v52, 0, v109, v52
	v_add_f64 v[20:21], v[20:21], v[2:3]
	ds_write2_b64 v52, v[20:21], v[90:91] offset1:10
	ds_write_b64 v52, v[88:89] offset:160
.LBB0_25:
	s_or_b64 exec, exec, s[6:7]
	v_add_f64 v[20:21], v[86:87], v[66:67]
	v_add_f64 v[52:53], v[96:97], v[70:71]
	;; [unrolled: 1-line block ×3, first 2 shown]
	v_add_f64 v[82:83], v[82:83], -v[92:93]
	v_add_f64 v[92:93], v[50:51], v[96:97]
	v_add_f64 v[84:85], v[84:85], -v[94:95]
	v_add_f64 v[94:95], v[80:81], v[68:69]
	v_add_f64 v[46:47], v[46:47], -v[64:65]
	v_fma_f64 v[16:17], v[20:21], -0.5, v[16:17]
	v_fma_f64 v[50:51], v[52:53], -0.5, v[50:51]
	v_add_f64 v[52:53], v[76:77], -v[78:79]
	v_add_f64 v[76:77], v[72:73], v[44:45]
	v_add_f64 v[20:21], v[18:19], v[80:81]
	;; [unrolled: 1-line block ×3, first 2 shown]
	v_fma_f64 v[18:19], v[94:95], -0.5, v[18:19]
	v_add_f64 v[2:3], v[74:75], -v[2:3]
	v_fma_f64 v[78:79], v[82:83], s[4:5], v[16:17]
	v_fma_f64 v[80:81], v[82:83], s[2:3], v[16:17]
	v_add_f64 v[16:17], v[12:13], v[72:73]
	v_fma_f64 v[12:13], v[76:77], -0.5, v[12:13]
	v_add_f64 v[68:69], v[20:21], v[68:69]
	v_add_f64 v[20:21], v[48:49], v[38:39]
	v_fma_f64 v[82:83], v[84:85], s[4:5], v[50:51]
	v_fma_f64 v[50:51], v[84:85], s[2:3], v[50:51]
	;; [unrolled: 1-line block ×4, first 2 shown]
	v_add_f64 v[76:77], v[16:17], v[44:45]
	v_add_f64 v[16:17], v[14:15], v[48:49]
	v_fma_f64 v[48:49], v[46:47], s[4:5], v[12:13]
	v_fma_f64 v[84:85], v[46:47], s[2:3], v[12:13]
	v_add_f64 v[12:13], v[8:9], v[60:61]
	v_fma_f64 v[14:15], v[20:21], -0.5, v[14:15]
	v_add_f64 v[20:21], v[42:43], -v[58:59]
	v_add_f64 v[18:19], v[60:61], v[36:37]
	v_add_f64 v[70:71], v[92:93], v[70:71]
	;; [unrolled: 1-line block ×4, first 2 shown]
	v_add_u32_e32 v100, 0xc00, v194
	v_add_f64 v[114:115], v[12:13], v[36:37]
	v_add_f64 v[12:13], v[28:29], v[30:31]
	v_fma_f64 v[96:97], v[20:21], s[4:5], v[14:15]
	v_fma_f64 v[112:113], v[20:21], s[2:3], v[14:15]
	v_add_f64 v[14:15], v[22:23], v[54:55]
	v_fma_f64 v[8:9], v[18:19], -0.5, v[8:9]
	v_add_f64 v[18:19], v[40:41], -v[62:63]
	v_add_f64 v[20:21], v[10:11], v[32:33]
	v_fma_f64 v[10:11], v[16:17], -0.5, v[10:11]
	v_fma_f64 v[12:13], v[12:13], -0.5, v[0:1]
	v_add_f64 v[16:17], v[24:25], -v[34:35]
	v_add_f64 v[22:23], v[4:5], v[22:23]
	v_fma_f64 v[4:5], v[14:15], -0.5, v[4:5]
	v_add_f64 v[14:15], v[26:27], -v[56:57]
	v_add_u32_e32 v102, 0x1800, v194
	v_add_u32_e32 v149, 0x2800, v194
	;; [unrolled: 1-line block ×3, first 2 shown]
	v_fma_f64 v[94:95], v[2:3], s[4:5], v[12:13]
	v_fma_f64 v[92:93], v[2:3], s[2:3], v[12:13]
	v_add_u32_e32 v148, 0x1c00, v194
	v_add_u32_e32 v103, 0x3800, v194
	;; [unrolled: 1-line block ×7, first 2 shown]
	v_fma_f64 v[116:117], v[18:19], s[4:5], v[8:9]
	v_fma_f64 v[74:75], v[18:19], s[2:3], v[8:9]
	v_add_f64 v[118:119], v[20:21], v[6:7]
	v_fma_f64 v[120:121], v[16:17], s[4:5], v[10:11]
	v_fma_f64 v[122:123], v[16:17], s[2:3], v[10:11]
	v_add_f64 v[124:125], v[22:23], v[54:55]
	v_fma_f64 v[126:127], v[14:15], s[4:5], v[4:5]
	v_fma_f64 v[128:129], v[14:15], s[2:3], v[4:5]
	s_waitcnt lgkmcnt(0)
	s_barrier
	ds_read2_b64 v[6:9], v194 offset1:180
	ds_read2_b64 v[52:55], v100 offset0:66 offset1:156
	ds_read2_b64 v[18:21], v102 offset0:42 offset1:132
	;; [unrolled: 1-line block ×4, first 2 shown]
	ds_read_b64 v[26:27], v177
	ds_read2_b64 v[44:47], v148 offset0:94 offset1:184
	ds_read2_b64 v[40:43], v103 offset0:98 offset1:188
	;; [unrolled: 1-line block ×7, first 2 shown]
	s_waitcnt lgkmcnt(0)
	s_barrier
	ds_write2_b64 v98, v[66:67], v[78:79] offset1:10
	ds_write_b64 v98, v[80:81] offset:160
	ds_write2_b64 v99, v[70:71], v[82:83] offset1:10
	ds_write_b64 v99, v[50:51] offset:160
	;; [unrolled: 2-line block ×8, first 2 shown]
	s_and_saveexec_b64 s[2:3], s[0:1]
	s_cbranch_execz .LBB0_27
; %bb.26:
	v_add_f64 v[0:1], v[0:1], v[28:29]
	v_lshlrev_b32_e32 v28, 3, v108
	v_add3_u32 v28, 0, v109, v28
	v_add_f64 v[0:1], v[0:1], v[30:31]
	ds_write2_b64 v28, v[0:1], v[94:95] offset1:10
	ds_write_b64 v28, v[92:93] offset:160
.LBB0_27:
	s_or_b64 exec, exec, s[2:3]
	s_movk_i32 s2, 0x89
	v_mul_lo_u16_sdwa v0, v192, s2 dst_sel:DWORD dst_unused:UNUSED_PAD src0_sel:BYTE_0 src1_sel:DWORD
	v_lshrrev_b16_e32 v0, 12, v0
	v_mul_lo_u16_e32 v1, 30, v0
	v_sub_u16_e32 v1, v192, v1
	v_mov_b32_e32 v28, 6
	v_lshlrev_b32_sdwa v29, v28, v1 dst_sel:DWORD dst_unused:UNUSED_PAD src0_sel:DWORD src1_sel:BYTE_0
	s_waitcnt lgkmcnt(0)
	s_barrier
	global_load_dwordx4 v[63:66], v29, s[8:9] offset:368
	global_load_dwordx4 v[67:70], v29, s[8:9] offset:352
	;; [unrolled: 1-line block ×4, first 2 shown]
	v_mul_lo_u16_sdwa v29, v193, s2 dst_sel:DWORD dst_unused:UNUSED_PAD src0_sel:BYTE_0 src1_sel:DWORD
	v_lshrrev_b16_e32 v152, 12, v29
	v_mul_lo_u16_e32 v29, 30, v152
	v_sub_u16_e32 v153, v193, v29
	v_lshlrev_b32_sdwa v28, v28, v153 dst_sel:DWORD dst_unused:UNUSED_PAD src0_sel:DWORD src1_sel:BYTE_0
	s_mov_b32 s2, 0x8889
	global_load_dwordx4 v[79:82], v28, s[8:9] offset:336
	global_load_dwordx4 v[83:86], v28, s[8:9] offset:320
	global_load_dwordx4 v[104:107], v28, s[8:9] offset:368
	global_load_dwordx4 v[112:115], v28, s[8:9] offset:352
	v_mul_u32_u24_sdwa v28, v172, s2 dst_sel:DWORD dst_unused:UNUSED_PAD src0_sel:WORD_0 src1_sel:DWORD
	v_lshrrev_b32_e32 v154, 20, v28
	v_mul_lo_u16_e32 v28, 30, v154
	v_sub_u16_e32 v155, v172, v28
	v_lshlrev_b32_e32 v28, 6, v155
	global_load_dwordx4 v[118:121], v28, s[8:9] offset:320
	global_load_dwordx4 v[156:159], v28, s[8:9] offset:336
	global_load_dwordx4 v[160:163], v28, s[8:9] offset:352
	global_load_dwordx4 v[164:167], v28, s[8:9] offset:368
	v_mul_u32_u24_sdwa v28, v173, s2 dst_sel:DWORD dst_unused:UNUSED_PAD src0_sel:WORD_0 src1_sel:DWORD
	v_lshrrev_b32_e32 v251, 20, v28
	v_mul_lo_u16_e32 v28, 30, v251
	v_sub_u16_e32 v252, v173, v28
	v_lshlrev_b32_e32 v28, 6, v252
	;; [unrolled: 9-line block ×3, first 2 shown]
	global_load_dwordx4 v[199:202], v28, s[8:9] offset:320
	global_load_dwordx4 v[203:206], v28, s[8:9] offset:336
	ds_read2_b64 v[48:51], v194 offset1:180
	ds_read2_b64 v[108:111], v100 offset0:66 offset1:156
	ds_read2_b64 v[207:210], v102 offset0:42 offset1:132
	ds_read2_b64 v[134:137], v149 offset0:70 offset1:160
	ds_read2_b64 v[211:214], v101 offset0:46 offset1:136
	global_load_dwordx4 v[215:218], v28, s[8:9] offset:368
	global_load_dwordx4 v[219:222], v28, s[8:9] offset:352
	ds_read_b64 v[98:99], v177
	ds_read2_b64 v[223:226], v148 offset0:94 offset1:184
	ds_read2_b64 v[227:230], v103 offset0:98 offset1:188
	;; [unrolled: 1-line block ×7, first 2 shown]
	s_mov_b32 s2, 0x134454ff
	s_mov_b32 s3, 0x3fee6f0e
	;; [unrolled: 1-line block ×10, first 2 shown]
	v_mul_u32_u24_e32 v0, 0x4b0, v0
	s_waitcnt vmcnt(0) lgkmcnt(0)
	s_barrier
	v_mul_f64 v[122:123], v[213:214], v[65:66]
	v_mul_f64 v[116:117], v[134:135], v[69:70]
	;; [unrolled: 1-line block ×12, first 2 shown]
	v_fma_f64 v[146:147], v[16:17], v[63:64], -v[122:123]
	v_mul_f64 v[16:17], v[36:37], v[120:121]
	v_mul_f64 v[73:74], v[20:21], v[73:74]
	v_mul_f64 v[85:86], v[54:55], v[85:86]
	v_mul_f64 v[81:82], v[44:45], v[81:82]
	v_mul_f64 v[106:107], v[40:41], v[106:107]
	v_mul_f64 v[249:250], v[231:232], v[120:121]
	v_fma_f64 v[140:141], v[20:21], v[71:72], -v[96:97]
	v_fma_f64 v[142:143], v[56:57], v[67:68], -v[116:117]
	v_fma_f64 v[130:131], v[134:135], v[67:68], v[69:70]
	v_fma_f64 v[126:127], v[213:214], v[63:64], v[65:66]
	v_fma_f64 v[134:135], v[54:55], v[83:84], -v[124:125]
	v_fma_f64 v[124:125], v[44:45], v[79:80], -v[128:129]
	;; [unrolled: 1-line block ×3, first 2 shown]
	v_fma_f64 v[112:113], v[136:137], v[112:113], v[114:115]
	v_fma_f64 v[136:137], v[40:41], v[104:105], -v[247:248]
	v_mul_f64 v[20:21], v[225:226], v[158:159]
	v_mul_f64 v[40:41], v[46:47], v[158:159]
	;; [unrolled: 1-line block ×3, first 2 shown]
	v_fma_f64 v[66:67], v[231:232], v[118:119], v[16:17]
	v_mul_f64 v[16:17], v[233:234], v[182:183]
	v_fma_f64 v[144:145], v[52:53], v[75:76], -v[60:61]
	v_fma_f64 v[138:139], v[108:109], v[75:76], v[77:78]
	v_fma_f64 v[108:109], v[110:111], v[83:84], v[85:86]
	;; [unrolled: 1-line block ×3, first 2 shown]
	v_mul_f64 v[52:53], v[32:33], v[162:163]
	v_fma_f64 v[116:117], v[36:37], v[118:119], -v[249:250]
	v_mul_f64 v[36:37], v[229:230], v[166:167]
	v_mul_f64 v[54:55], v[42:43], v[166:167]
	v_fma_f64 v[104:105], v[46:47], v[156:157], -v[20:21]
	v_fma_f64 v[68:69], v[225:226], v[156:157], v[40:41]
	v_fma_f64 v[106:107], v[32:33], v[160:161], -v[44:45]
	v_mul_f64 v[20:21], v[38:39], v[182:183]
	v_mul_f64 v[32:33], v[239:240], v[186:187]
	;; [unrolled: 1-line block ×3, first 2 shown]
	v_fma_f64 v[84:85], v[38:39], v[180:181], -v[16:17]
	v_mul_f64 v[16:17], v[243:244], v[197:198]
	v_fma_f64 v[110:111], v[223:224], v[79:80], v[81:82]
	v_fma_f64 v[122:123], v[42:43], v[164:165], -v[36:37]
	v_fma_f64 v[76:77], v[229:230], v[164:165], v[54:55]
	v_mul_f64 v[36:37], v[22:23], v[186:187]
	v_mul_f64 v[42:43], v[34:35], v[190:191]
	;; [unrolled: 1-line block ×3, first 2 shown]
	v_fma_f64 v[54:55], v[233:234], v[180:181], v[20:21]
	v_fma_f64 v[80:81], v[22:23], v[184:185], -v[32:33]
	v_fma_f64 v[82:83], v[34:35], v[188:189], -v[40:41]
	v_mul_f64 v[20:21], v[207:208], v[201:202]
	v_fma_f64 v[118:119], v[10:11], v[195:196], -v[16:17]
	v_mul_f64 v[10:11], v[18:19], v[201:202]
	v_mul_f64 v[16:17], v[241:242], v[205:206]
	v_add_f64 v[22:23], v[6:7], v[144:145]
	v_add_f64 v[34:35], v[140:141], v[142:143]
	v_fma_f64 v[132:133], v[209:210], v[71:72], v[73:74]
	v_fma_f64 v[56:57], v[239:240], v[184:185], v[36:37]
	v_mul_f64 v[32:33], v[24:25], v[205:206]
	v_fma_f64 v[72:73], v[18:19], v[199:200], -v[20:21]
	v_mul_f64 v[18:19], v[211:212], v[221:222]
	v_mul_f64 v[20:21], v[14:15], v[221:222]
	v_fma_f64 v[60:61], v[207:208], v[199:200], v[10:11]
	v_fma_f64 v[74:75], v[24:25], v[203:204], -v[16:17]
	v_add_f64 v[10:11], v[22:23], v[140:141]
	v_fma_f64 v[16:17], v[34:35], -0.5, v[6:7]
	v_add_f64 v[22:23], v[138:139], -v[126:127]
	v_add_f64 v[36:37], v[144:145], v[146:147]
	v_fma_f64 v[64:65], v[241:242], v[203:204], v[32:33]
	v_fma_f64 v[78:79], v[14:15], v[219:220], -v[18:19]
	v_fma_f64 v[62:63], v[211:212], v[219:220], v[20:21]
	v_mul_f64 v[14:15], v[245:246], v[217:218]
	v_add_f64 v[24:25], v[132:133], -v[130:131]
	v_add_f64 v[32:33], v[144:145], -v[140:141]
	v_fma_f64 v[20:21], v[22:23], s[2:3], v[16:17]
	v_add_f64 v[34:35], v[146:147], -v[142:143]
	v_fma_f64 v[6:7], v[36:37], -0.5, v[6:7]
	v_mul_f64 v[18:19], v[12:13], v[217:218]
	v_fma_f64 v[16:17], v[22:23], s[10:11], v[16:17]
	v_fma_f64 v[120:121], v[12:13], v[215:216], -v[14:15]
	v_add_f64 v[36:37], v[142:143], -v[146:147]
	v_fma_f64 v[58:59], v[243:244], v[195:196], v[38:39]
	v_fma_f64 v[12:13], v[24:25], s[6:7], v[20:21]
	v_add_f64 v[14:15], v[32:33], v[34:35]
	v_add_f64 v[20:21], v[124:125], v[128:129]
	v_fma_f64 v[32:33], v[24:25], s[10:11], v[6:7]
	v_add_f64 v[34:35], v[140:141], -v[144:145]
	v_fma_f64 v[6:7], v[24:25], s[2:3], v[6:7]
	v_fma_f64 v[16:17], v[24:25], s[16:17], v[16:17]
	v_add_f64 v[24:25], v[108:109], -v[114:115]
	v_fma_f64 v[86:87], v[245:246], v[215:216], v[18:19]
	v_add_f64 v[18:19], v[26:27], v[134:135]
	v_fma_f64 v[20:21], v[20:21], -0.5, v[26:27]
	v_fma_f64 v[32:33], v[22:23], s[6:7], v[32:33]
	v_add_f64 v[34:35], v[34:35], v[36:37]
	v_fma_f64 v[6:7], v[22:23], s[16:17], v[6:7]
	v_add_f64 v[22:23], v[134:135], v[136:137]
	v_fma_f64 v[12:13], v[14:15], s[4:5], v[12:13]
	v_fma_f64 v[14:15], v[14:15], s[4:5], v[16:17]
	v_add_f64 v[36:37], v[110:111], -v[112:113]
	v_fma_f64 v[16:17], v[24:25], s[2:3], v[20:21]
	v_fma_f64 v[20:21], v[24:25], s[10:11], v[20:21]
	;; [unrolled: 1-line block ×4, first 2 shown]
	v_fma_f64 v[22:23], v[22:23], -0.5, v[26:27]
	v_add_f64 v[26:27], v[134:135], -v[124:125]
	v_add_f64 v[34:35], v[136:137], -v[128:129]
	v_add_f64 v[38:39], v[8:9], v[116:117]
	v_fma_f64 v[16:17], v[36:37], s[6:7], v[16:17]
	v_add_f64 v[40:41], v[104:105], v[106:107]
	v_fma_f64 v[20:21], v[36:37], s[16:17], v[20:21]
	v_fma_f64 v[70:71], v[235:236], v[160:161], v[52:53]
	;; [unrolled: 1-line block ×4, first 2 shown]
	v_add_f64 v[26:27], v[26:27], v[34:35]
	v_add_f64 v[44:45], v[124:125], -v[134:135]
	v_add_f64 v[46:47], v[128:129], -v[136:137]
	v_fma_f64 v[22:23], v[36:37], s[2:3], v[22:23]
	v_add_f64 v[34:35], v[38:39], v[104:105]
	v_fma_f64 v[36:37], v[40:41], -0.5, v[8:9]
	v_add_f64 v[38:39], v[66:67], -v[76:77]
	v_fma_f64 v[40:41], v[24:25], s[6:7], v[42:43]
	v_fma_f64 v[16:17], v[26:27], s[4:5], v[16:17]
	;; [unrolled: 1-line block ×3, first 2 shown]
	v_add_f64 v[26:27], v[116:117], v[122:123]
	v_add_f64 v[42:43], v[44:45], v[46:47]
	v_fma_f64 v[22:23], v[24:25], s[16:17], v[22:23]
	v_add_f64 v[46:47], v[80:81], v[82:83]
	v_add_f64 v[24:25], v[34:35], v[106:107]
	v_fma_f64 v[34:35], v[38:39], s[2:3], v[36:37]
	v_add_f64 v[44:45], v[68:69], -v[70:71]
	v_add_f64 v[96:97], v[116:117], -v[104:105]
	;; [unrolled: 1-line block ×3, first 2 shown]
	v_fma_f64 v[8:9], v[26:27], -0.5, v[8:9]
	v_fma_f64 v[36:37], v[38:39], s[10:11], v[36:37]
	v_fma_f64 v[40:41], v[42:43], s[4:5], v[40:41]
	;; [unrolled: 1-line block ×3, first 2 shown]
	v_fma_f64 v[42:43], v[46:47], -0.5, v[2:3]
	v_add_f64 v[46:47], v[54:55], -v[58:59]
	v_fma_f64 v[26:27], v[44:45], s[6:7], v[34:35]
	v_add_f64 v[96:97], v[96:97], v[156:157]
	v_fma_f64 v[156:157], v[44:45], s[10:11], v[8:9]
	v_add_f64 v[158:159], v[104:105], -v[116:117]
	v_add_f64 v[160:161], v[106:107], -v[122:123]
	v_fma_f64 v[8:9], v[44:45], s[2:3], v[8:9]
	v_fma_f64 v[36:37], v[44:45], s[16:17], v[36:37]
	;; [unrolled: 1-line block ×3, first 2 shown]
	v_add_f64 v[164:165], v[56:57], -v[52:53]
	v_add_f64 v[166:167], v[84:85], -v[80:81]
	v_add_f64 v[168:169], v[118:119], -v[82:83]
	v_add_f64 v[44:45], v[84:85], v[118:119]
	v_fma_f64 v[156:157], v[38:39], s[6:7], v[156:157]
	v_add_f64 v[158:159], v[158:159], v[160:161]
	v_fma_f64 v[8:9], v[38:39], s[16:17], v[8:9]
	v_fma_f64 v[26:27], v[96:97], s[4:5], v[26:27]
	;; [unrolled: 1-line block ×3, first 2 shown]
	v_add_f64 v[96:97], v[74:75], v[78:79]
	v_fma_f64 v[38:39], v[164:165], s[6:7], v[162:163]
	v_add_f64 v[162:163], v[72:73], v[120:121]
	v_add_f64 v[34:35], v[2:3], v[84:85]
	;; [unrolled: 1-line block ×3, first 2 shown]
	v_fma_f64 v[2:3], v[44:45], -0.5, v[2:3]
	v_fma_f64 v[44:45], v[158:159], s[4:5], v[156:157]
	v_fma_f64 v[8:9], v[158:159], s[4:5], v[8:9]
	;; [unrolled: 1-line block ×3, first 2 shown]
	v_add_f64 v[158:159], v[80:81], -v[84:85]
	v_add_f64 v[166:167], v[82:83], -v[118:119]
	v_add_f64 v[168:169], v[4:5], v[72:73]
	v_fma_f64 v[96:97], v[96:97], -0.5, v[4:5]
	v_add_f64 v[180:181], v[60:61], -v[86:87]
	v_add_f64 v[182:183], v[64:65], -v[62:63]
	v_fma_f64 v[4:5], v[162:163], -0.5, v[4:5]
	v_add_f64 v[18:19], v[18:19], v[124:125]
	v_add_f64 v[34:35], v[34:35], v[80:81]
	v_fma_f64 v[156:157], v[164:165], s[10:11], v[2:3]
	v_fma_f64 v[42:43], v[164:165], s[16:17], v[42:43]
	v_add_f64 v[158:159], v[158:159], v[166:167]
	v_fma_f64 v[2:3], v[164:165], s[2:3], v[2:3]
	v_add_f64 v[162:163], v[168:169], v[74:75]
	v_fma_f64 v[164:165], v[180:181], s[2:3], v[96:97]
	v_add_f64 v[166:167], v[72:73], -v[74:75]
	v_add_f64 v[168:169], v[120:121], -v[78:79]
	v_fma_f64 v[184:185], v[182:183], s[10:11], v[4:5]
	v_add_f64 v[186:187], v[74:75], -v[72:73]
	v_add_f64 v[188:189], v[78:79], -v[120:121]
	v_fma_f64 v[4:5], v[182:183], s[2:3], v[4:5]
	v_fma_f64 v[96:97], v[180:181], s[10:11], v[96:97]
	v_add_f64 v[10:11], v[10:11], v[142:143]
	v_add_f64 v[18:19], v[18:19], v[128:129]
	v_add_f64 v[34:35], v[34:35], v[82:83]
	v_fma_f64 v[156:157], v[46:47], s[6:7], v[156:157]
	v_fma_f64 v[2:3], v[46:47], s[16:17], v[2:3]
	v_add_f64 v[46:47], v[162:163], v[78:79]
	v_fma_f64 v[162:163], v[182:183], s[6:7], v[164:165]
	v_add_f64 v[164:165], v[166:167], v[168:169]
	;; [unrolled: 2-line block ×3, first 2 shown]
	v_fma_f64 v[4:5], v[180:181], s[16:17], v[4:5]
	v_fma_f64 v[96:97], v[182:183], s[16:17], v[96:97]
	v_add_f64 v[10:11], v[10:11], v[146:147]
	v_add_f64 v[18:19], v[18:19], v[136:137]
	;; [unrolled: 1-line block ×4, first 2 shown]
	v_fma_f64 v[38:39], v[160:161], s[4:5], v[38:39]
	v_fma_f64 v[42:43], v[160:161], s[4:5], v[42:43]
	v_fma_f64 v[160:161], v[158:159], s[4:5], v[156:157]
	v_fma_f64 v[2:3], v[158:159], s[4:5], v[2:3]
	v_add_f64 v[46:47], v[46:47], v[120:121]
	v_fma_f64 v[157:158], v[164:165], s[4:5], v[162:163]
	v_fma_f64 v[162:163], v[168:169], s[4:5], v[166:167]
	;; [unrolled: 1-line block ×3, first 2 shown]
	v_mov_b32_e32 v159, 3
	v_fma_f64 v[96:97], v[164:165], s[4:5], v[96:97]
	v_lshlrev_b32_sdwa v1, v159, v1 dst_sel:DWORD dst_unused:UNUSED_PAD src0_sel:DWORD src1_sel:BYTE_0
	v_add3_u32 v156, 0, v0, v1
	v_mul_u32_u24_e32 v0, 0x4b0, v152
	v_lshlrev_b32_sdwa v1, v159, v153 dst_sel:DWORD dst_unused:UNUSED_PAD src0_sel:DWORD src1_sel:BYTE_0
	v_add3_u32 v152, 0, v0, v1
	v_mul_u32_u24_e32 v0, 0x4b0, v154
	v_lshlrev_b32_e32 v1, 3, v155
	v_add3_u32 v153, 0, v0, v1
	v_mul_u32_u24_e32 v0, 0x4b0, v251
	v_lshlrev_b32_e32 v1, 3, v252
	;; [unrolled: 3-line block ×3, first 2 shown]
	v_add3_u32 v155, 0, v0, v1
	ds_write2_b64 v156, v[10:11], v[12:13] offset1:30
	ds_write2_b64 v156, v[32:33], v[6:7] offset0:60 offset1:90
	ds_write_b64 v156, v[14:15] offset:960
	ds_write2_b64 v152, v[18:19], v[16:17] offset1:30
	ds_write2_b64 v152, v[40:41], v[22:23] offset0:60 offset1:90
	ds_write_b64 v152, v[20:21] offset:960
	;; [unrolled: 3-line block ×5, first 2 shown]
	s_waitcnt lgkmcnt(0)
	s_barrier
	ds_read2_b64 v[12:15], v194 offset1:180
	ds_read2_b64 v[0:3], v151 offset0:118 offset1:238
	ds_read2_b64 v[16:19], v149 offset0:100 offset1:220
	ds_read2_b64 v[40:43], v102 offset0:72 offset1:162
	v_add_u32_e32 v151, 0x3000, v194
	ds_read2_b64 v[44:47], v151 offset0:54 offset1:144
	ds_read2_b64 v[8:11], v150 offset0:14 offset1:104
	;; [unrolled: 1-line block ×5, first 2 shown]
	v_add_u32_e32 v149, 0x2400, v194
	ds_read2_b64 v[24:27], v149 offset0:48 offset1:138
	ds_read2_b64 v[20:23], v103 offset0:158 offset1:248
	ds_read_b64 v[100:101], v177
	ds_read_b64 v[102:103], v194 offset:17040
	v_lshl_add_u32 v148, v192, 3, 0
	s_and_saveexec_b64 s[18:19], s[0:1]
	s_cbranch_execz .LBB0_29
; %bb.28:
	ds_read_b64 v[90:91], v194 offset:11760
	ds_read_b64 v[96:97], v148 offset:5760
	;; [unrolled: 1-line block ×3, first 2 shown]
.LBB0_29:
	s_or_b64 exec, exec, s[18:19]
	v_add_f64 v[157:158], v[132:133], v[130:131]
	v_add_f64 v[144:145], v[144:145], -v[146:147]
	v_add_f64 v[146:147], v[138:139], v[126:127]
	v_add_f64 v[159:160], v[48:49], v[138:139]
	v_add_f64 v[140:141], v[140:141], -v[142:143]
	v_add_f64 v[142:143], v[138:139], -v[132:133]
	;; [unrolled: 1-line block ×3, first 2 shown]
	v_add_f64 v[165:166], v[98:99], v[108:109]
	v_fma_f64 v[157:158], v[157:158], -0.5, v[48:49]
	v_add_f64 v[138:139], v[132:133], -v[138:139]
	v_fma_f64 v[48:49], v[146:147], -0.5, v[48:49]
	v_add_f64 v[163:164], v[130:131], -v[126:127]
	v_add_f64 v[146:147], v[110:111], v[112:113]
	v_add_f64 v[134:135], v[134:135], -v[136:137]
	v_add_f64 v[132:133], v[159:160], v[132:133]
	v_add_f64 v[142:143], v[142:143], v[161:162]
	v_fma_f64 v[136:137], v[144:145], s[10:11], v[157:158]
	v_fma_f64 v[157:158], v[144:145], s[2:3], v[157:158]
	;; [unrolled: 1-line block ×4, first 2 shown]
	v_add_f64 v[165:166], v[165:166], v[110:111]
	v_add_f64 v[159:160], v[108:109], v[114:115]
	;; [unrolled: 1-line block ×4, first 2 shown]
	v_fma_f64 v[132:133], v[140:141], s[16:17], v[136:137]
	v_fma_f64 v[136:137], v[140:141], s[6:7], v[157:158]
	v_fma_f64 v[140:141], v[146:147], -0.5, v[98:99]
	v_fma_f64 v[146:147], v[144:145], s[16:17], v[161:162]
	v_fma_f64 v[48:49], v[144:145], s[6:7], v[48:49]
	v_add_f64 v[144:145], v[165:166], v[112:113]
	v_add_f64 v[126:127], v[130:131], v[126:127]
	v_add_f64 v[124:125], v[124:125], -v[128:129]
	v_fma_f64 v[130:131], v[142:143], s[4:5], v[132:133]
	v_fma_f64 v[132:133], v[142:143], s[4:5], v[136:137]
	;; [unrolled: 1-line block ×5, first 2 shown]
	v_fma_f64 v[98:99], v[159:160], -0.5, v[98:99]
	v_add_f64 v[138:139], v[144:145], v[114:115]
	v_add_f64 v[142:143], v[108:109], -v[110:111]
	v_add_f64 v[144:145], v[114:115], -v[112:113]
	v_fma_f64 v[140:141], v[134:135], s[2:3], v[140:141]
	v_add_f64 v[146:147], v[50:51], v[66:67]
	v_fma_f64 v[136:137], v[124:125], s[16:17], v[136:137]
	v_add_f64 v[108:109], v[110:111], -v[108:109]
	v_fma_f64 v[159:160], v[124:125], s[2:3], v[98:99]
	v_add_f64 v[110:111], v[112:113], -v[114:115]
	v_fma_f64 v[98:99], v[124:125], s[10:11], v[98:99]
	v_add_f64 v[112:113], v[142:143], v[144:145]
	v_fma_f64 v[114:115], v[124:125], s[6:7], v[140:141]
	v_add_f64 v[124:125], v[146:147], v[68:69]
	v_add_f64 v[157:158], v[68:69], v[70:71]
	v_add_f64 v[116:117], v[116:117], -v[122:123]
	v_fma_f64 v[122:123], v[134:135], s[16:17], v[159:160]
	v_add_f64 v[108:109], v[108:109], v[110:111]
	v_add_f64 v[104:105], v[104:105], -v[106:107]
	v_fma_f64 v[110:111], v[112:113], s[4:5], v[136:137]
	v_fma_f64 v[112:113], v[112:113], s[4:5], v[114:115]
	v_add_f64 v[114:115], v[124:125], v[70:71]
	v_add_f64 v[124:125], v[66:67], v[76:77]
	v_fma_f64 v[140:141], v[157:158], -0.5, v[50:51]
	v_add_f64 v[136:137], v[66:67], -v[68:69]
	v_add_f64 v[142:143], v[76:77], -v[70:71]
	v_fma_f64 v[98:99], v[134:135], s[6:7], v[98:99]
	v_fma_f64 v[106:107], v[108:109], s[4:5], v[122:123]
	v_add_f64 v[122:123], v[56:57], v[52:53]
	v_add_f64 v[84:85], v[84:85], -v[118:119]
	v_fma_f64 v[50:51], v[124:125], -0.5, v[50:51]
	v_add_f64 v[124:125], v[28:29], v[54:55]
	v_fma_f64 v[134:135], v[116:117], s[10:11], v[140:141]
	v_add_f64 v[118:119], v[136:137], v[142:143]
	v_add_f64 v[66:67], v[68:69], -v[66:67]
	v_add_f64 v[68:69], v[70:71], -v[76:77]
	v_fma_f64 v[108:109], v[108:109], s[4:5], v[98:99]
	v_fma_f64 v[122:123], v[122:123], -0.5, v[28:29]
	v_fma_f64 v[136:137], v[104:105], s[2:3], v[50:51]
	v_fma_f64 v[50:51], v[104:105], s[10:11], v[50:51]
	v_add_f64 v[70:71], v[124:125], v[56:57]
	v_fma_f64 v[98:99], v[104:105], s[16:17], v[134:135]
	v_fma_f64 v[134:135], v[116:117], s[2:3], v[140:141]
	v_add_f64 v[66:67], v[66:67], v[68:69]
	v_add_f64 v[114:115], v[114:115], v[76:77]
	v_fma_f64 v[76:77], v[84:85], s[10:11], v[122:123]
	v_fma_f64 v[136:137], v[116:117], s[16:17], v[136:137]
	;; [unrolled: 1-line block ×3, first 2 shown]
	v_add_f64 v[68:69], v[70:71], v[52:53]
	v_add_f64 v[80:81], v[80:81], -v[82:83]
	v_add_f64 v[82:83], v[54:55], -v[56:57]
	;; [unrolled: 1-line block ×3, first 2 shown]
	v_fma_f64 v[104:105], v[104:105], s[6:7], v[134:135]
	v_add_f64 v[134:135], v[54:55], v[58:59]
	v_fma_f64 v[116:117], v[66:67], s[4:5], v[136:137]
	v_fma_f64 v[50:51], v[66:67], s[4:5], v[50:51]
	v_add_f64 v[66:67], v[68:69], v[58:59]
	v_add_f64 v[68:69], v[64:65], v[62:63]
	v_add_f64 v[54:55], v[56:57], -v[54:55]
	v_add_f64 v[56:57], v[60:61], v[86:87]
	v_fma_f64 v[70:71], v[80:81], s[16:17], v[76:77]
	v_add_f64 v[76:77], v[82:83], v[124:125]
	v_fma_f64 v[82:83], v[118:119], s[4:5], v[98:99]
	v_fma_f64 v[28:29], v[134:135], -0.5, v[28:29]
	v_fma_f64 v[98:99], v[84:85], s[2:3], v[122:123]
	v_add_f64 v[52:53], v[52:53], -v[58:59]
	v_add_f64 v[58:59], v[30:31], v[60:61]
	v_fma_f64 v[68:69], v[68:69], -0.5, v[30:31]
	v_add_f64 v[72:73], v[72:73], -v[120:121]
	v_add_f64 v[74:75], v[74:75], -v[78:79]
	v_fma_f64 v[30:31], v[56:57], -0.5, v[30:31]
	v_fma_f64 v[104:105], v[118:119], s[4:5], v[104:105]
	v_fma_f64 v[118:119], v[80:81], s[2:3], v[28:29]
	;; [unrolled: 1-line block ×3, first 2 shown]
	v_add_f64 v[52:53], v[54:55], v[52:53]
	v_fma_f64 v[28:29], v[80:81], s[10:11], v[28:29]
	v_add_f64 v[54:55], v[58:59], v[64:65]
	v_fma_f64 v[56:57], v[72:73], s[10:11], v[68:69]
	v_add_f64 v[58:59], v[60:61], -v[64:65]
	v_add_f64 v[78:79], v[86:87], -v[62:63]
	v_fma_f64 v[68:69], v[72:73], s[2:3], v[68:69]
	v_fma_f64 v[80:81], v[74:75], s[2:3], v[30:31]
	v_add_f64 v[60:61], v[64:65], -v[60:61]
	v_add_f64 v[64:65], v[62:63], -v[86:87]
	v_fma_f64 v[30:31], v[74:75], s[10:11], v[30:31]
	v_fma_f64 v[118:119], v[84:85], s[16:17], v[118:119]
	;; [unrolled: 1-line block ×3, first 2 shown]
	v_add_f64 v[54:55], v[54:55], v[62:63]
	v_fma_f64 v[56:57], v[74:75], s[16:17], v[56:57]
	v_add_f64 v[58:59], v[58:59], v[78:79]
	v_fma_f64 v[62:63], v[74:75], s[6:7], v[68:69]
	v_fma_f64 v[68:69], v[72:73], s[16:17], v[80:81]
	v_add_f64 v[60:61], v[60:61], v[64:65]
	v_fma_f64 v[30:31], v[72:73], s[6:7], v[30:31]
	v_fma_f64 v[70:71], v[76:77], s[4:5], v[70:71]
	;; [unrolled: 1-line block ×5, first 2 shown]
	v_add_f64 v[52:53], v[54:55], v[86:87]
	v_fma_f64 v[54:55], v[58:59], s[4:5], v[56:57]
	v_fma_f64 v[98:99], v[58:59], s[4:5], v[62:63]
	;; [unrolled: 1-line block ×4, first 2 shown]
	s_waitcnt lgkmcnt(0)
	s_barrier
	ds_write2_b64 v156, v[126:127], v[130:131] offset1:30
	ds_write2_b64 v156, v[128:129], v[48:49] offset0:60 offset1:90
	ds_write_b64 v156, v[132:133] offset:960
	ds_write2_b64 v152, v[138:139], v[110:111] offset1:30
	ds_write2_b64 v152, v[106:107], v[108:109] offset0:60 offset1:90
	ds_write_b64 v152, v[112:113] offset:960
	;; [unrolled: 3-line block ×5, first 2 shown]
	v_add_u32_e32 v48, 0x2800, v194
	s_waitcnt lgkmcnt(0)
	s_barrier
	v_add_u32_e32 v28, 0x1000, v194
	ds_read2_b64 v[60:63], v48 offset0:100 offset1:220
	v_add_u32_e32 v48, 0x1800, v194
	ds_read2_b64 v[56:59], v194 offset1:180
	ds_read2_b64 v[28:31], v28 offset0:118 offset1:238
	ds_read2_b64 v[84:87], v48 offset0:72 offset1:162
	;; [unrolled: 1-line block ×3, first 2 shown]
	v_add_u32_e32 v48, 0x800, v194
	ds_read2_b64 v[52:55], v48 offset0:14 offset1:104
	v_add_u32_e32 v48, 0x1c00, v194
	ds_read2_b64 v[76:79], v48 offset0:124 offset1:214
	;; [unrolled: 2-line block ×3, first 2 shown]
	v_add_u32_e32 v48, 0xc00, v194
	v_add_u32_e32 v64, 0x3800, v194
	ds_read2_b64 v[48:51], v48 offset0:66 offset1:156
	ds_read2_b64 v[68:71], v149 offset0:48 offset1:138
	;; [unrolled: 1-line block ×3, first 2 shown]
	ds_read_b64 v[104:105], v177
	ds_read_b64 v[106:107], v194 offset:17040
	s_and_saveexec_b64 s[2:3], s[0:1]
	s_cbranch_execz .LBB0_31
; %bb.30:
	ds_read_b64 v[94:95], v194 offset:11760
	ds_read_b64 v[98:99], v148 offset:5760
	ds_read_b64 v[92:93], v194 offset:17760
.LBB0_31:
	s_or_b64 exec, exec, s[2:3]
	v_lshlrev_b32_e32 v112, 1, v192
	v_mov_b32_e32 v113, 0
	v_lshlrev_b64 v[108:109], 4, v[112:113]
	v_mov_b32_e32 v120, s9
	v_add_co_u32_e64 v114, s[2:3], s8, v108
	v_addc_co_u32_e64 v115, s[2:3], v120, v109, s[2:3]
	v_subrev_u32_e32 v118, 60, v192
	v_cmp_gt_u32_e64 s[2:3], 60, v192
	v_add_u32_e32 v112, 60, v112
	v_cndmask_b32_e64 v169, v118, v193, s[2:3]
	v_mov_b32_e32 v119, v113
	v_lshlrev_b64 v[112:113], 4, v[112:113]
	v_lshlrev_b32_e32 v118, 1, v169
	v_lshlrev_b64 v[118:119], 4, v[118:119]
	v_add_co_u32_e64 v112, s[2:3], s8, v112
	v_addc_co_u32_e64 v113, s[2:3], v120, v113, s[2:3]
	global_load_dwordx4 v[108:111], v[114:115], off offset:2256
	s_nop 0
	global_load_dwordx4 v[114:117], v[114:115], off offset:2240
	s_nop 0
	global_load_dwordx4 v[128:131], v[112:113], off offset:2256
	global_load_dwordx4 v[122:125], v[112:113], off offset:2240
	v_add_co_u32_e64 v112, s[2:3], s8, v118
	v_addc_co_u32_e64 v113, s[2:3], v120, v119, s[2:3]
	global_load_dwordx4 v[132:135], v[112:113], off offset:2240
	global_load_dwordx4 v[136:139], v[112:113], off offset:2256
	v_lshrrev_b16_e32 v112, 1, v173
	v_mul_u32_u24_e32 v112, 0xda75, v112
	v_lshrrev_b32_e32 v207, 22, v112
	v_mul_lo_u16_e32 v112, 0x96, v207
	v_sub_u16_e32 v208, v173, v112
	v_lshlrev_b32_e32 v112, 5, v208
	global_load_dwordx4 v[140:143], v112, s[8:9] offset:2240
	global_load_dwordx4 v[144:147], v112, s[8:9] offset:2256
	v_lshrrev_b16_e32 v112, 1, v174
	v_mul_u32_u24_e32 v112, 0xda75, v112
	v_lshrrev_b32_e32 v112, 22, v112
	v_mul_lo_u16_e32 v112, 0x96, v112
	v_sub_u16_e32 v209, v174, v112
	v_lshlrev_b32_e32 v112, 5, v209
	global_load_dwordx4 v[149:152], v112, s[8:9] offset:2256
	global_load_dwordx4 v[153:156], v112, s[8:9] offset:2240
	;; [unrolled: 8-line block ×6, first 2 shown]
	s_mov_b32 s4, 0xe8584caa
	s_mov_b32 s5, 0x3febb67a
	;; [unrolled: 1-line block ×4, first 2 shown]
	v_cmp_lt_u32_e64 s[2:3], 59, v192
	s_waitcnt vmcnt(0) lgkmcnt(0)
	s_barrier
	v_mul_f64 v[120:121], v[62:63], v[110:111]
	v_mul_f64 v[112:113], v[30:31], v[116:117]
	;; [unrolled: 1-line block ×10, first 2 shown]
	v_fma_f64 v[112:113], v[2:3], v[114:115], -v[112:113]
	v_fma_f64 v[118:119], v[30:31], v[114:115], v[116:117]
	v_fma_f64 v[120:121], v[18:19], v[108:109], -v[120:121]
	v_mul_f64 v[2:3], v[46:47], v[130:131]
	v_fma_f64 v[116:117], v[40:41], v[132:133], -v[124:125]
	v_mul_f64 v[18:19], v[76:77], v[142:143]
	;; [unrolled: 2-line block ×3, first 2 shown]
	v_mul_f64 v[44:45], v[72:73], v[146:147]
	v_mul_f64 v[205:206], v[82:83], v[130:131]
	v_fma_f64 v[108:109], v[62:63], v[108:109], v[110:111]
	v_fma_f64 v[126:127], v[84:85], v[132:133], v[126:127]
	;; [unrolled: 1-line block ×3, first 2 shown]
	v_fma_f64 v[110:111], v[42:43], v[122:123], -v[178:179]
	v_fma_f64 v[40:41], v[82:83], v[128:129], v[2:3]
	v_fma_f64 v[42:43], v[36:37], v[140:141], -v[18:19]
	v_mul_f64 v[2:3], v[32:33], v[146:147]
	v_fma_f64 v[76:77], v[76:77], v[140:141], v[30:31]
	v_mul_f64 v[18:19], v[78:79], v[155:156]
	v_mul_f64 v[30:31], v[38:39], v[155:156]
	;; [unrolled: 1-line block ×3, first 2 shown]
	v_fma_f64 v[80:81], v[32:33], v[144:145], -v[44:45]
	v_mul_f64 v[32:33], v[34:35], v[151:152]
	v_fma_f64 v[122:123], v[86:87], v[122:123], v[203:204]
	v_fma_f64 v[114:115], v[46:47], v[128:129], -v[205:206]
	v_mul_f64 v[44:45], v[68:69], v[159:160]
	v_mul_f64 v[46:47], v[24:25], v[159:160]
	v_fma_f64 v[82:83], v[38:39], v[153:154], -v[18:19]
	v_fma_f64 v[86:87], v[78:79], v[153:154], v[30:31]
	v_fma_f64 v[78:79], v[34:35], v[149:150], -v[36:37]
	v_mul_f64 v[18:19], v[64:65], v[163:164]
	v_fma_f64 v[62:63], v[74:75], v[149:150], v[32:33]
	v_mul_f64 v[32:33], v[20:21], v[163:164]
	v_mul_f64 v[34:35], v[70:71], v[182:183]
	;; [unrolled: 1-line block ×3, first 2 shown]
	v_fma_f64 v[72:73], v[72:73], v[144:145], v[2:3]
	v_fma_f64 v[2:3], v[24:25], v[157:158], -v[44:45]
	v_fma_f64 v[24:25], v[68:69], v[157:158], v[46:47]
	v_fma_f64 v[30:31], v[20:21], v[161:162], -v[18:19]
	v_mul_f64 v[20:21], v[22:23], v[167:168]
	v_mul_f64 v[44:45], v[60:61], v[186:187]
	v_fma_f64 v[18:19], v[64:65], v[161:162], v[32:33]
	v_mul_f64 v[46:47], v[16:17], v[186:187]
	v_fma_f64 v[32:33], v[26:27], v[180:181], -v[34:35]
	v_fma_f64 v[34:35], v[22:23], v[165:166], -v[38:39]
	v_mul_f64 v[22:23], v[106:107], v[190:191]
	v_mul_f64 v[36:37], v[26:27], v[182:183]
	v_fma_f64 v[26:27], v[66:67], v[165:166], v[20:21]
	v_fma_f64 v[16:17], v[16:17], v[184:185], -v[44:45]
	v_mul_f64 v[20:21], v[102:103], v[190:191]
	v_fma_f64 v[38:39], v[60:61], v[184:185], v[46:47]
	v_mul_f64 v[44:45], v[94:95], v[197:198]
	v_mul_f64 v[46:47], v[90:91], v[197:198]
	v_add_f64 v[66:67], v[112:113], v[120:121]
	v_fma_f64 v[64:65], v[102:103], v[188:189], -v[22:23]
	v_mul_f64 v[22:23], v[92:93], v[201:202]
	v_mul_f64 v[68:69], v[88:89], v[201:202]
	v_fma_f64 v[36:37], v[70:71], v[180:181], v[36:37]
	v_fma_f64 v[60:61], v[106:107], v[188:189], v[20:21]
	v_add_f64 v[70:71], v[12:13], v[112:113]
	v_fma_f64 v[20:21], v[90:91], v[195:196], -v[44:45]
	v_fma_f64 v[44:45], v[94:95], v[195:196], v[46:47]
	v_fma_f64 v[12:13], v[66:67], -0.5, v[12:13]
	v_add_f64 v[66:67], v[118:119], -v[108:109]
	v_fma_f64 v[46:47], v[88:89], v[199:200], -v[22:23]
	v_fma_f64 v[22:23], v[92:93], v[199:200], v[68:69]
	v_add_f64 v[68:69], v[116:117], v[124:125]
	v_add_f64 v[74:75], v[100:101], v[116:117]
	;; [unrolled: 1-line block ×3, first 2 shown]
	v_add_f64 v[92:93], v[126:127], -v[84:85]
	v_add_f64 v[102:103], v[82:83], v[78:79]
	v_fma_f64 v[88:89], v[66:67], s[4:5], v[12:13]
	v_fma_f64 v[12:13], v[66:67], s[6:7], v[12:13]
	v_add_f64 v[94:95], v[14:15], v[110:111]
	v_fma_f64 v[68:69], v[68:69], -0.5, v[100:101]
	v_add_f64 v[66:67], v[74:75], v[124:125]
	v_add_f64 v[74:75], v[42:43], v[80:81]
	v_fma_f64 v[14:15], v[90:91], -0.5, v[14:15]
	v_add_f64 v[90:91], v[122:123], -v[40:41]
	v_add_f64 v[128:129], v[10:11], v[82:83]
	v_fma_f64 v[10:11], v[102:103], -0.5, v[10:11]
	v_add_f64 v[102:103], v[86:87], -v[62:63]
	v_fma_f64 v[100:101], v[92:93], s[4:5], v[68:69]
	v_fma_f64 v[68:69], v[92:93], s[6:7], v[68:69]
	v_add_f64 v[92:93], v[8:9], v[42:43]
	v_fma_f64 v[8:9], v[74:75], -0.5, v[8:9]
	v_add_f64 v[74:75], v[76:77], -v[72:73]
	v_add_f64 v[130:131], v[2:3], v[30:31]
	v_fma_f64 v[106:107], v[90:91], s[4:5], v[14:15]
	v_fma_f64 v[14:15], v[90:91], s[6:7], v[14:15]
	;; [unrolled: 1-line block ×4, first 2 shown]
	v_add_f64 v[90:91], v[92:93], v[80:81]
	v_add_f64 v[102:103], v[16:17], v[64:65]
	v_fma_f64 v[92:93], v[74:75], s[4:5], v[8:9]
	v_fma_f64 v[8:9], v[74:75], s[6:7], v[8:9]
	v_add_f64 v[74:75], v[128:129], v[78:79]
	v_add_f64 v[128:129], v[32:33], v[34:35]
	;; [unrolled: 1-line block ×3, first 2 shown]
	v_fma_f64 v[4:5], v[130:131], -0.5, v[4:5]
	v_add_f64 v[130:131], v[24:25], -v[18:19]
	v_add_f64 v[136:137], v[6:7], v[32:33]
	v_add_f64 v[138:139], v[0:1], v[16:17]
	v_fma_f64 v[0:1], v[102:103], -0.5, v[0:1]
	v_add_f64 v[102:103], v[38:39], -v[60:61]
	v_fma_f64 v[6:7], v[128:129], -0.5, v[6:7]
	v_add_f64 v[128:129], v[36:37], -v[26:27]
	v_add_f64 v[70:71], v[70:71], v[120:121]
	v_add_f64 v[94:95], v[94:95], v[114:115]
	;; [unrolled: 1-line block ×3, first 2 shown]
	v_fma_f64 v[140:141], v[130:131], s[4:5], v[4:5]
	v_fma_f64 v[130:131], v[130:131], s[6:7], v[4:5]
	v_mov_b32_e32 v4, 0xe10
	v_add_f64 v[136:137], v[136:137], v[34:35]
	v_fma_f64 v[142:143], v[128:129], s[4:5], v[6:7]
	v_add_f64 v[138:139], v[138:139], v[64:65]
	v_fma_f64 v[144:145], v[102:103], s[4:5], v[0:1]
	v_cndmask_b32_e64 v4, 0, v4, s[2:3]
	v_lshlrev_b32_e32 v5, 3, v169
	v_fma_f64 v[128:129], v[128:129], s[6:7], v[6:7]
	v_fma_f64 v[0:1], v[102:103], s[6:7], v[0:1]
	v_add3_u32 v5, 0, v4, v5
	v_add_u32_e32 v4, 0xc00, v148
	ds_write2_b64 v194, v[70:71], v[88:89] offset1:150
	ds_write_b64 v194, v[12:13] offset:2400
	ds_write2_b64 v5, v[66:67], v[100:101] offset1:150
	ds_write_b64 v5, v[68:69] offset:2400
	ds_write2_b64 v4, v[94:95], v[106:107] offset0:96 offset1:246
	ds_write_b64 v148, v[14:15] offset:6240
	v_mul_u32_u24_e32 v4, 0xe10, v207
	v_lshlrev_b32_e32 v6, 3, v208
	v_add3_u32 v6, 0, v4, v6
	v_lshl_add_u32 v7, v209, 3, 0
	ds_write2_b64 v6, v[90:91], v[92:93] offset1:150
	ds_write_b64 v6, v[8:9] offset:2400
	v_add_u32_e32 v4, 0x1c00, v7
	v_lshl_add_u32 v8, v210, 3, 0
	ds_write2_b64 v4, v[74:75], v[132:133] offset0:4 offset1:154
	ds_write_b64 v7, v[10:11] offset:9600
	v_add_u32_e32 v4, 0x2800, v8
	ds_write2_b64 v4, v[134:135], v[140:141] offset0:70 offset1:220
	ds_write_b64 v8, v[130:131] offset:13200
	v_mul_u32_u24_e32 v4, 0xe10, v211
	v_lshlrev_b32_e32 v9, 3, v212
	v_lshl_add_u32 v10, v213, 3, 0
	v_add3_u32 v9, 0, v4, v9
	v_add_u32_e32 v4, 0x3800, v10
	ds_write2_b64 v9, v[136:137], v[142:143] offset1:150
	ds_write_b64 v9, v[128:129] offset:2400
	ds_write2_b64 v4, v[138:139], v[144:145] offset0:8 offset1:158
	ds_write_b64 v10, v[0:1] offset:16800
	v_lshl_add_u32 v4, v214, 3, 0
	s_and_saveexec_b64 s[2:3], s[0:1]
	s_cbranch_execz .LBB0_33
; %bb.32:
	v_add_f64 v[0:1], v[20:21], v[46:47]
	v_add_f64 v[11:12], v[44:45], -v[22:23]
	v_add_f64 v[13:14], v[96:97], v[20:21]
	v_fma_f64 v[0:1], v[0:1], -0.5, v[96:97]
	v_add_f64 v[13:14], v[13:14], v[46:47]
	v_fma_f64 v[66:67], v[11:12], s[4:5], v[0:1]
	v_fma_f64 v[0:1], v[11:12], s[6:7], v[0:1]
	v_add_u32_e32 v11, 0x3800, v4
	ds_write2_b64 v11, v[13:14], v[66:67] offset0:8 offset1:158
	ds_write_b64 v4, v[0:1] offset:16800
.LBB0_33:
	s_or_b64 exec, exec, s[2:3]
	v_add_f64 v[0:1], v[118:119], v[108:109]
	v_add_f64 v[11:12], v[126:127], v[84:85]
	;; [unrolled: 1-line block ×3, first 2 shown]
	v_add_f64 v[66:67], v[112:113], -v[120:121]
	v_add_f64 v[74:75], v[122:123], v[40:41]
	v_add_f64 v[70:71], v[116:117], -v[124:125]
	v_add_f64 v[90:91], v[76:77], v[72:73]
	v_add_f64 v[88:89], v[110:111], -v[114:115]
	v_fma_f64 v[0:1], v[0:1], -0.5, v[56:57]
	v_add_f64 v[56:57], v[58:59], v[122:123]
	v_fma_f64 v[11:12], v[11:12], -0.5, v[104:105]
	v_add_f64 v[92:93], v[13:14], v[108:109]
	v_fma_f64 v[13:14], v[74:75], -0.5, v[58:59]
	v_add_f64 v[42:43], v[42:43], -v[80:81]
	v_add_f64 v[15:16], v[16:17], -v[64:65]
	;; [unrolled: 1-line block ×3, first 2 shown]
	v_fma_f64 v[74:75], v[66:67], s[6:7], v[0:1]
	v_fma_f64 v[66:67], v[66:67], s[4:5], v[0:1]
	v_add_f64 v[0:1], v[86:87], v[62:63]
	v_fma_f64 v[94:95], v[70:71], s[6:7], v[11:12]
	v_fma_f64 v[70:71], v[70:71], s[4:5], v[11:12]
	v_add_f64 v[11:12], v[52:53], v[76:77]
	v_add_f64 v[76:77], v[56:57], v[40:41]
	;; [unrolled: 1-line block ×3, first 2 shown]
	v_fma_f64 v[52:53], v[90:91], -0.5, v[52:53]
	v_fma_f64 v[80:81], v[88:89], s[6:7], v[13:14]
	v_fma_f64 v[0:1], v[0:1], -0.5, v[54:55]
	v_add_f64 v[54:55], v[82:83], -v[78:79]
	v_fma_f64 v[78:79], v[88:89], s[4:5], v[13:14]
	v_add_f64 v[13:14], v[36:37], v[26:27]
	v_add_f64 v[72:73], v[11:12], v[72:73]
	;; [unrolled: 1-line block ×5, first 2 shown]
	v_add_f64 v[32:33], v[32:33], -v[34:35]
	v_fma_f64 v[90:91], v[54:55], s[6:7], v[0:1]
	v_fma_f64 v[96:97], v[54:55], s[4:5], v[0:1]
	v_add_f64 v[0:1], v[38:39], v[60:61]
	v_fma_f64 v[13:14], v[13:14], -0.5, v[50:51]
	v_add_f64 v[34:35], v[28:29], v[38:39]
	v_add_f64 v[68:69], v[104:105], v[126:127]
	v_fma_f64 v[11:12], v[11:12], -0.5, v[48:49]
	v_add_f64 v[64:65], v[24:25], v[18:19]
	v_add_f64 v[104:105], v[30:31], v[26:27]
	s_waitcnt lgkmcnt(0)
	v_fma_f64 v[0:1], v[0:1], -0.5, v[28:29]
	s_barrier
	v_fma_f64 v[106:107], v[32:33], s[6:7], v[13:14]
	v_fma_f64 v[108:109], v[32:33], s[4:5], v[13:14]
	v_add_f64 v[110:111], v[34:35], v[60:61]
	v_add_f64 v[68:69], v[68:69], v[84:85]
	v_fma_f64 v[100:101], v[2:3], s[6:7], v[11:12]
	v_fma_f64 v[112:113], v[15:16], s[6:7], v[0:1]
	;; [unrolled: 1-line block ×3, first 2 shown]
	v_add_u32_e32 v0, 0xc00, v194
	ds_read2_b64 v[24:27], v0 offset0:66 offset1:156
	v_add_u32_e32 v0, 0x1800, v194
	ds_read2_b64 v[32:35], v0 offset0:42 offset1:132
	;; [unrolled: 2-line block ×3, first 2 shown]
	v_add_u32_e32 v0, 0x3400, v194
	v_fma_f64 v[102:103], v[2:3], s[4:5], v[11:12]
	ds_read2_b64 v[12:15], v194 offset1:180
	ds_read2_b64 v[28:31], v0 offset0:46 offset1:136
	ds_read_b64 v[84:85], v177
	v_add_u32_e32 v0, 0x1c00, v194
	v_add_f64 v[88:89], v[40:41], v[62:63]
	ds_read2_b64 v[60:63], v0 offset0:94 offset1:184
	v_add_u32_e32 v0, 0x3800, v194
	ds_read2_b64 v[56:59], v0 offset0:98 offset1:188
	v_add_u32_e32 v0, 0x1000, v194
	v_fma_f64 v[82:83], v[42:43], s[6:7], v[52:53]
	v_fma_f64 v[86:87], v[42:43], s[4:5], v[52:53]
	ds_read2_b64 v[40:43], v0 offset0:118 offset1:208
	v_add_u32_e32 v0, 0x2c00, v194
	ds_read2_b64 v[48:51], v0 offset0:122 offset1:212
	v_add_u32_e32 v0, 0x800, v194
	;; [unrolled: 2-line block ×4, first 2 shown]
	ds_read2_b64 v[0:3], v0 offset0:22 offset1:112
	s_waitcnt lgkmcnt(0)
	s_barrier
	ds_write2_b64 v194, v[92:93], v[74:75] offset1:150
	ds_write_b64 v194, v[66:67] offset:2400
	ds_write2_b64 v5, v[68:69], v[94:95] offset1:150
	ds_write_b64 v5, v[70:71] offset:2400
	v_add_u32_e32 v5, 0xc00, v148
	ds_write2_b64 v5, v[76:77], v[80:81] offset0:96 offset1:246
	ds_write_b64 v148, v[78:79] offset:6240
	ds_write2_b64 v6, v[72:73], v[82:83] offset1:150
	ds_write_b64 v6, v[86:87] offset:2400
	v_add_u32_e32 v5, 0x1c00, v7
	ds_write2_b64 v5, v[88:89], v[90:91] offset0:4 offset1:154
	ds_write_b64 v7, v[96:97] offset:9600
	v_add_u32_e32 v5, 0x2800, v8
	ds_write2_b64 v5, v[64:65], v[100:101] offset0:70 offset1:220
	ds_write_b64 v8, v[102:103] offset:13200
	ds_write2_b64 v9, v[104:105], v[106:107] offset1:150
	ds_write_b64 v9, v[108:109] offset:2400
	v_add_u32_e32 v5, 0x3800, v10
	ds_write2_b64 v5, v[110:111], v[112:113] offset0:8 offset1:158
	ds_write_b64 v10, v[114:115] offset:16800
	s_and_saveexec_b64 s[2:3], s[0:1]
	s_cbranch_execz .LBB0_35
; %bb.34:
	v_add_f64 v[5:6], v[44:45], v[22:23]
	v_add_f64 v[7:8], v[98:99], v[44:45]
	v_add_f64 v[9:10], v[20:21], -v[46:47]
	s_mov_b32 s1, 0xbfebb67a
	s_mov_b32 s0, 0xe8584caa
	v_fma_f64 v[5:6], v[5:6], -0.5, v[98:99]
	v_add_f64 v[7:8], v[7:8], v[22:23]
	v_fma_f64 v[20:21], v[9:10], s[0:1], v[5:6]
	s_mov_b32 s1, 0x3febb67a
	v_fma_f64 v[5:6], v[9:10], s[0:1], v[5:6]
	v_add_u32_e32 v9, 0x3800, v4
	ds_write2_b64 v9, v[7:8], v[20:21] offset0:8 offset1:158
	ds_write_b64 v4, v[5:6] offset:16800
.LBB0_35:
	s_or_b64 exec, exec, s[2:3]
	s_waitcnt lgkmcnt(0)
	s_barrier
	s_and_saveexec_b64 s[0:1], vcc
	s_cbranch_execz .LBB0_37
; %bb.36:
	v_lshlrev_b32_e32 v76, 2, v174
	v_mov_b32_e32 v77, 0
	v_lshlrev_b64 v[4:5], 4, v[76:77]
	v_mov_b32_e32 v80, s9
	v_add_co_u32_e32 v4, vcc, s8, v4
	v_addc_co_u32_e32 v20, vcc, v80, v5, vcc
	v_add_co_u32_e32 v64, vcc, 0x1b80, v4
	v_addc_co_u32_e32 v65, vcc, 0, v20, vcc
	;; [unrolled: 2-line block ×3, first 2 shown]
	global_load_dwordx4 v[4:7], v[64:65], off offset:32
	global_load_dwordx4 v[8:11], v[64:65], off offset:16
	;; [unrolled: 1-line block ×4, first 2 shown]
	v_add_u32_e32 v64, 0x2000, v194
	v_add_u32_e32 v65, 0x1800, v194
	;; [unrolled: 1-line block ×6, first 2 shown]
	ds_read2_b64 v[72:75], v64 offset0:146 offset1:236
	ds_read2_b64 v[68:71], v65 offset0:42 offset1:132
	;; [unrolled: 1-line block ×5, first 2 shown]
	v_lshlrev_b32_e32 v76, 2, v173
	ds_read2_b64 v[94:97], v79 offset0:118 offset1:208
	v_lshlrev_b64 v[78:79], 4, v[76:77]
	v_lshlrev_b32_e32 v76, 2, v172
	v_lshlrev_b64 v[81:82], 4, v[76:77]
	v_add_co_u32_e32 v76, vcc, s8, v78
	s_movk_i32 s9, 0x1b80
	v_addc_co_u32_e32 v83, vcc, v80, v79, vcc
	v_add_co_u32_e32 v78, vcc, s9, v76
	s_movk_i32 s16, 0x1000
	v_addc_co_u32_e32 v79, vcc, 0, v83, vcc
	v_add_co_u32_e32 v114, vcc, s16, v76
	v_addc_co_u32_e32 v115, vcc, 0, v83, vcc
	global_load_dwordx4 v[98:101], v[114:115], off offset:2944
	global_load_dwordx4 v[102:105], v[78:79], off offset:48
	;; [unrolled: 1-line block ×4, first 2 shown]
	v_add_co_u32_e32 v76, vcc, s8, v81
	v_addc_co_u32_e32 v83, vcc, v80, v82, vcc
	s_mov_b32 s4, 0x134454ff
	s_mov_b32 s5, 0xbfee6f0e
	;; [unrolled: 1-line block ×10, first 2 shown]
	s_waitcnt vmcnt(7) lgkmcnt(3)
	v_mul_f64 v[114:115], v[4:5], v[64:65]
	s_waitcnt vmcnt(6)
	v_mul_f64 v[78:79], v[8:9], v[74:75]
	v_mul_f64 v[74:75], v[10:11], v[74:75]
	;; [unrolled: 1-line block ×3, first 2 shown]
	s_waitcnt vmcnt(5)
	v_mul_f64 v[116:117], v[20:21], v[68:69]
	s_waitcnt vmcnt(4) lgkmcnt(2)
	v_mul_f64 v[118:119], v[44:45], v[88:89]
	v_mul_f64 v[68:69], v[22:23], v[68:69]
	;; [unrolled: 1-line block ×3, first 2 shown]
	v_fma_f64 v[6:7], v[28:29], v[6:7], v[114:115]
	v_fma_f64 v[10:11], v[18:19], v[10:11], v[78:79]
	v_fma_f64 v[74:75], v[18:19], v[8:9], -v[74:75]
	v_fma_f64 v[28:29], v[28:29], v[4:5], -v[64:65]
	v_fma_f64 v[4:5], v[32:33], v[22:23], v[116:117]
	v_fma_f64 v[8:9], v[2:3], v[46:47], v[118:119]
	v_fma_f64 v[20:21], v[32:33], v[20:21], -v[68:69]
	v_fma_f64 v[32:33], v[2:3], v[44:45], -v[88:89]
	v_add_f64 v[18:19], v[10:11], v[6:7]
	v_add_f64 v[44:45], v[10:11], -v[6:7]
	v_add_f64 v[22:23], v[74:75], v[28:29]
	v_add_f64 v[46:47], v[10:11], -v[4:5]
	;; [unrolled: 2-line block ×4, first 2 shown]
	v_add_f64 v[68:69], v[20:21], -v[32:33]
	v_add_f64 v[81:82], v[4:5], -v[10:11]
	;; [unrolled: 1-line block ×3, first 2 shown]
	s_waitcnt lgkmcnt(1)
	v_add_f64 v[114:115], v[4:5], v[92:93]
	v_fma_f64 v[18:19], v[18:19], -0.5, v[92:93]
	v_fma_f64 v[126:127], v[22:23], -0.5, v[54:55]
	;; [unrolled: 1-line block ×3, first 2 shown]
	v_add_f64 v[46:47], v[46:47], v[64:65]
	v_fma_f64 v[64:65], v[120:121], -0.5, v[54:55]
	v_add_f64 v[122:123], v[4:5], -v[8:9]
	v_add_f64 v[4:5], v[20:21], -v[74:75]
	;; [unrolled: 1-line block ×3, first 2 shown]
	v_add_f64 v[78:79], v[81:82], v[88:89]
	v_add_f64 v[10:11], v[10:11], v[114:115]
	v_fma_f64 v[88:89], v[68:69], s[10:11], v[18:19]
	v_fma_f64 v[18:19], v[68:69], s[4:5], v[18:19]
	;; [unrolled: 1-line block ×4, first 2 shown]
	v_add_f64 v[116:117], v[74:75], -v[20:21]
	v_add_f64 v[118:119], v[28:29], -v[32:33]
	v_fma_f64 v[114:115], v[44:45], s[10:11], v[64:65]
	v_fma_f64 v[64:65], v[44:45], s[4:5], v[64:65]
	v_add_f64 v[134:135], v[4:5], v[124:125]
	v_add_f64 v[4:5], v[6:7], v[10:11]
	v_fma_f64 v[6:7], v[2:3], s[2:3], v[88:89]
	v_fma_f64 v[10:11], v[2:3], s[6:7], v[18:19]
	;; [unrolled: 1-line block ×4, first 2 shown]
	v_add_f64 v[81:82], v[116:117], v[118:119]
	v_fma_f64 v[64:65], v[122:123], s[2:3], v[64:65]
	v_fma_f64 v[92:93], v[122:123], s[6:7], v[114:115]
	v_add_f64 v[22:23], v[8:9], v[4:5]
	v_fma_f64 v[2:3], v[78:79], s[0:1], v[6:7]
	v_fma_f64 v[18:19], v[78:79], s[0:1], v[10:11]
	;; [unrolled: 1-line block ×4, first 2 shown]
	v_add_co_u32_e32 v46, vcc, s9, v76
	v_addc_co_u32_e32 v47, vcc, 0, v83, vcc
	v_fma_f64 v[8:9], v[81:82], s[0:1], v[64:65]
	v_add_co_u32_e32 v64, vcc, s16, v76
	v_addc_co_u32_e32 v65, vcc, 0, v83, vcc
	global_load_dwordx4 v[114:117], v[64:65], off offset:2944
	global_load_dwordx4 v[118:121], v[46:47], off offset:48
	v_fma_f64 v[130:131], v[122:123], s[4:5], v[126:127]
	v_fma_f64 v[64:65], v[122:123], s[10:11], v[126:127]
	global_load_dwordx4 v[122:125], v[46:47], off offset:32
	global_load_dwordx4 v[126:129], v[46:47], off offset:16
	s_waitcnt vmcnt(7) lgkmcnt(0)
	v_mul_f64 v[46:47], v[98:99], v[96:97]
	s_waitcnt vmcnt(6)
	v_mul_f64 v[78:79], v[102:103], v[86:87]
	v_add_f64 v[20:21], v[54:55], v[20:21]
	v_add_u32_e32 v76, 0x2c00, v194
	s_waitcnt vmcnt(4)
	v_mul_f64 v[54:55], v[110:111], v[72:73]
	v_fma_f64 v[68:69], v[44:45], s[6:7], v[130:131]
	ds_read2_b64 v[130:133], v76 offset0:122 offset1:212
	v_fma_f64 v[44:45], v[44:45], s[2:3], v[64:65]
	v_fma_f64 v[46:47], v[42:43], v[100:101], v[46:47]
	;; [unrolled: 1-line block ×3, first 2 shown]
	v_add_f64 v[20:21], v[74:75], v[20:21]
	s_waitcnt lgkmcnt(0)
	v_mul_f64 v[64:65], v[106:107], v[132:133]
	v_mul_f64 v[74:75], v[100:101], v[96:97]
	;; [unrolled: 1-line block ×3, first 2 shown]
	v_fma_f64 v[4:5], v[81:82], s[0:1], v[92:93]
	v_mul_f64 v[72:73], v[112:113], v[72:73]
	v_mul_f64 v[81:82], v[108:109], v[132:133]
	v_fma_f64 v[54:55], v[16:17], v[112:113], v[54:55]
	v_add_f64 v[88:89], v[46:47], v[78:79]
	v_fma_f64 v[64:65], v[50:51], v[108:109], v[64:65]
	v_add_f64 v[20:21], v[20:21], v[28:29]
	v_fma_f64 v[28:29], v[42:43], v[98:99], -v[74:75]
	v_fma_f64 v[74:75], v[0:1], v[102:103], -v[86:87]
	;; [unrolled: 1-line block ×4, first 2 shown]
	v_add_f64 v[42:43], v[54:55], -v[46:47]
	v_fma_f64 v[86:87], v[88:89], -0.5, v[90:91]
	v_add_f64 v[50:51], v[64:65], -v[78:79]
	v_add_f64 v[88:89], v[54:55], v[64:65]
	v_fma_f64 v[16:17], v[134:135], s[0:1], v[44:45]
	v_add_f64 v[44:45], v[28:29], v[74:75]
	v_add_f64 v[20:21], v[20:21], v[32:33]
	v_add_f64 v[92:93], v[72:73], -v[81:82]
	v_add_f64 v[112:113], v[54:55], -v[64:65]
	v_fma_f64 v[0:1], v[134:135], s[0:1], v[68:69]
	v_add_f64 v[32:33], v[42:43], v[50:51]
	v_add_f64 v[42:43], v[28:29], -v[74:75]
	v_fma_f64 v[50:51], v[88:89], -0.5, v[90:91]
	v_add_f64 v[88:89], v[46:47], v[90:91]
	v_fma_f64 v[44:45], v[44:45], -0.5, v[52:53]
	v_fma_f64 v[68:69], v[92:93], s[4:5], v[86:87]
	v_fma_f64 v[86:87], v[92:93], s[10:11], v[86:87]
	v_add_f64 v[90:91], v[46:47], -v[54:55]
	v_add_f64 v[96:97], v[78:79], -v[64:65]
	;; [unrolled: 1-line block ×3, first 2 shown]
	v_fma_f64 v[98:99], v[42:43], s[10:11], v[50:51]
	v_add_f64 v[54:55], v[54:55], v[88:89]
	v_add_f64 v[88:89], v[72:73], -v[28:29]
	v_fma_f64 v[102:103], v[112:113], s[10:11], v[44:45]
	v_add_f64 v[104:105], v[46:47], -v[78:79]
	v_fma_f64 v[50:51], v[42:43], s[4:5], v[50:51]
	v_fma_f64 v[46:47], v[42:43], s[2:3], v[68:69]
	;; [unrolled: 1-line block ×3, first 2 shown]
	v_add_f64 v[68:69], v[90:91], v[96:97]
	v_fma_f64 v[86:87], v[92:93], s[2:3], v[98:99]
	v_add_f64 v[132:133], v[88:89], v[100:101]
	v_add_f64 v[64:65], v[64:65], v[54:55]
	v_fma_f64 v[88:89], v[104:105], s[6:7], v[102:103]
	v_fma_f64 v[90:91], v[92:93], s[6:7], v[50:51]
	;; [unrolled: 1-line block ×4, first 2 shown]
	v_add_f64 v[32:33], v[72:73], v[81:82]
	v_fma_f64 v[92:93], v[112:113], s[4:5], v[44:45]
	v_add_u32_e32 v76, 0x3800, v194
	v_fma_f64 v[42:43], v[68:69], s[0:1], v[86:87]
	v_fma_f64 v[44:45], v[132:133], s[0:1], v[88:89]
	ds_read2_b64 v[86:89], v76 offset0:98 offset1:188
	v_add_f64 v[64:65], v[78:79], v[64:65]
	v_add_f64 v[78:79], v[28:29], -v[72:73]
	v_fma_f64 v[32:33], v[32:33], -0.5, v[52:53]
	v_add_f64 v[28:29], v[52:53], v[28:29]
	v_add_u32_e32 v52, 0x1c00, v194
	v_fma_f64 v[54:55], v[68:69], s[0:1], v[90:91]
	v_fma_f64 v[68:69], v[104:105], s[2:3], v[92:93]
	ds_read2_b64 v[90:93], v52 offset0:94 offset1:184
	s_waitcnt vmcnt(3)
	v_mul_f64 v[52:53], v[114:115], v[94:95]
	s_waitcnt vmcnt(2) lgkmcnt(1)
	v_mul_f64 v[98:99], v[118:119], v[88:89]
	v_add_f64 v[96:97], v[74:75], -v[81:82]
	s_waitcnt vmcnt(1)
	v_mul_f64 v[100:101], v[122:123], v[130:131]
	v_add_f64 v[28:29], v[72:73], v[28:29]
	v_lshlrev_b32_e32 v76, 2, v193
	v_fma_f64 v[134:135], v[104:105], s[4:5], v[32:33]
	v_fma_f64 v[32:33], v[104:105], s[10:11], v[32:33]
	;; [unrolled: 1-line block ×4, first 2 shown]
	v_mul_f64 v[98:99], v[124:125], v[130:131]
	s_waitcnt vmcnt(0) lgkmcnt(0)
	v_mul_f64 v[52:53], v[128:129], v[92:93]
	v_add_f64 v[78:79], v[78:79], v[96:97]
	v_mul_f64 v[96:97], v[126:127], v[92:93]
	v_fma_f64 v[124:125], v[48:49], v[124:125], v[100:101]
	v_mul_f64 v[104:105], v[116:117], v[94:95]
	ds_read2_b64 v[92:95], v194 offset1:180
	v_mul_f64 v[88:89], v[120:121], v[88:89]
	v_fma_f64 v[140:141], v[48:49], v[122:123], -v[98:99]
	v_lshlrev_b64 v[48:49], 4, v[76:77]
	v_fma_f64 v[138:139], v[62:63], v[126:127], -v[52:53]
	v_add_co_u32_e32 v52, vcc, s8, v48
	v_addc_co_u32_e32 v53, vcc, v80, v49, vcc
	v_add_co_u32_e32 v48, vcc, s16, v52
	v_addc_co_u32_e32 v49, vcc, 0, v53, vcc
	v_fma_f64 v[128:129], v[62:63], v[128:129], v[96:97]
	global_load_dwordx4 v[96:99], v[48:49], off offset:2944
	v_add_co_u32_e32 v48, vcc, s9, v52
	v_addc_co_u32_e32 v49, vcc, 0, v53, vcc
	global_load_dwordx4 v[100:103], v[48:49], off offset:48
	v_fma_f64 v[142:143], v[40:41], v[114:115], -v[104:105]
	global_load_dwordx4 v[104:107], v[48:49], off offset:32
	global_load_dwordx4 v[108:111], v[48:49], off offset:16
	v_add_f64 v[116:117], v[72:73], v[136:137]
	v_fma_f64 v[88:89], v[58:59], v[118:119], -v[88:89]
	v_fma_f64 v[32:33], v[112:113], s[2:3], v[32:33]
	v_add_f64 v[118:119], v[128:129], v[124:125]
	v_fma_f64 v[40:41], v[112:113], s[6:7], v[134:135]
	v_add_f64 v[114:115], v[138:139], -v[140:141]
	v_fma_f64 v[48:49], v[132:133], s[0:1], v[68:69]
	v_add_f64 v[28:29], v[28:29], v[81:82]
	s_waitcnt lgkmcnt(0)
	v_fma_f64 v[58:59], v[116:117], -0.5, v[94:95]
	v_add_f64 v[68:69], v[142:143], v[88:89]
	v_add_f64 v[81:82], v[128:129], -v[72:73]
	v_add_f64 v[112:113], v[124:125], -v[136:137]
	;; [unrolled: 1-line block ×3, first 2 shown]
	v_fma_f64 v[52:53], v[78:79], s[0:1], v[32:33]
	v_fma_f64 v[32:33], v[118:119], -0.5, v[94:95]
	v_fma_f64 v[40:41], v[78:79], s[0:1], v[40:41]
	v_add_f64 v[78:79], v[72:73], v[94:95]
	v_fma_f64 v[120:121], v[114:115], s[4:5], v[58:59]
	v_fma_f64 v[68:69], v[68:69], -0.5, v[14:15]
	v_add_f64 v[94:95], v[128:129], -v[124:125]
	v_add_f64 v[62:63], v[28:29], v[74:75]
	v_add_f64 v[28:29], v[81:82], v[112:113]
	v_fma_f64 v[58:59], v[114:115], s[10:11], v[58:59]
	v_add_f64 v[81:82], v[72:73], -v[128:129]
	v_add_f64 v[112:113], v[136:137], -v[124:125]
	v_fma_f64 v[118:119], v[116:117], s[10:11], v[32:33]
	v_fma_f64 v[32:33], v[116:117], s[4:5], v[32:33]
	v_add_f64 v[78:79], v[128:129], v[78:79]
	v_fma_f64 v[74:75], v[116:117], s[2:3], v[120:121]
	v_add_f64 v[120:121], v[138:139], -v[142:143]
	v_add_f64 v[122:123], v[140:141], -v[88:89]
	v_fma_f64 v[126:127], v[94:95], s[10:11], v[68:69]
	v_add_f64 v[144:145], v[72:73], -v[136:137]
	v_fma_f64 v[58:59], v[116:117], s[6:7], v[58:59]
	v_add_f64 v[72:73], v[81:82], v[112:113]
	v_fma_f64 v[81:82], v[114:115], s[2:3], v[118:119]
	v_add_f64 v[112:113], v[138:139], v[140:141]
	;; [unrolled: 2-line block ×3, first 2 shown]
	v_lshlrev_b32_e32 v76, 2, v192
	v_add_f64 v[132:133], v[120:121], v[122:123]
	v_fma_f64 v[116:117], v[144:145], s[6:7], v[126:127]
	v_lshlrev_b64 v[76:77], 4, v[76:77]
	v_fma_f64 v[74:75], v[28:29], s[0:1], v[74:75]
	v_fma_f64 v[78:79], v[28:29], s[0:1], v[58:59]
	;; [unrolled: 1-line block ×3, first 2 shown]
	v_add_co_u32_e32 v81, vcc, s8, v76
	v_addc_co_u32_e32 v80, vcc, v80, v77, vcc
	v_add_co_u32_e32 v76, vcc, s16, v81
	v_addc_co_u32_e32 v77, vcc, 0, v80, vcc
	v_fma_f64 v[146:147], v[112:113], -0.5, v[14:15]
	v_add_f64 v[82:83], v[136:137], v[114:115]
	global_load_dwordx4 v[112:115], v[76:77], off offset:2944
	v_add_co_u32_e32 v76, vcc, s9, v81
	v_addc_co_u32_e32 v77, vcc, 0, v80, vcc
	v_fma_f64 v[68:69], v[94:95], s[4:5], v[68:69]
	v_fma_f64 v[58:59], v[72:73], s[0:1], v[32:33]
	;; [unrolled: 1-line block ×3, first 2 shown]
	global_load_dwordx4 v[116:119], v[76:77], off offset:48
	v_add_u32_e32 v80, 0xc00, v194
	v_add_f64 v[134:135], v[88:89], -v[140:141]
	v_fma_f64 v[136:137], v[144:145], s[4:5], v[146:147]
	ds_read2_b64 v[120:123], v80 offset0:66 offset1:156
	v_fma_f64 v[32:33], v[144:145], s[2:3], v[68:69]
	v_add_f64 v[68:69], v[142:143], -v[138:139]
	global_load_dwordx4 v[124:127], v[76:77], off offset:32
	global_load_dwordx4 v[128:131], v[76:77], off offset:16
	v_add_f64 v[14:15], v[14:15], v[142:143]
	v_fma_f64 v[144:145], v[144:145], s[10:11], v[146:147]
	v_fma_f64 v[80:81], v[94:95], s[6:7], v[136:137]
	;; [unrolled: 1-line block ×3, first 2 shown]
	v_add_f64 v[32:33], v[68:69], v[134:135]
	s_waitcnt vmcnt(7) lgkmcnt(0)
	v_mul_f64 v[68:69], v[96:97], v[122:123]
	s_waitcnt vmcnt(6)
	v_mul_f64 v[136:137], v[100:101], v[86:87]
	v_add_u32_e32 v132, 0x2800, v194
	ds_read2_b64 v[132:135], v132 offset0:70 offset1:160
	s_waitcnt vmcnt(4)
	v_mul_f64 v[142:143], v[108:109], v[90:91]
	v_mul_f64 v[90:91], v[110:111], v[90:91]
	v_add_f64 v[14:15], v[138:139], v[14:15]
	v_mul_f64 v[86:87], v[102:103], v[86:87]
	v_fma_f64 v[68:69], v[26:27], v[98:99], v[68:69]
	s_waitcnt lgkmcnt(0)
	v_mul_f64 v[146:147], v[104:105], v[134:135]
	v_fma_f64 v[136:137], v[56:57], v[102:103], v[136:137]
	v_mul_f64 v[134:135], v[106:107], v[134:135]
	v_fma_f64 v[110:111], v[60:61], v[110:111], v[142:143]
	v_mul_f64 v[98:99], v[98:99], v[122:123]
	v_fma_f64 v[60:61], v[60:61], v[108:109], -v[90:91]
	v_add_f64 v[14:15], v[14:15], v[140:141]
	v_fma_f64 v[102:103], v[38:39], v[106:107], v[146:147]
	v_add_f64 v[106:107], v[68:69], v[136:137]
	v_fma_f64 v[90:91], v[38:39], v[104:105], -v[134:135]
	v_fma_f64 v[38:39], v[94:95], s[2:3], v[144:145]
	ds_read_b64 v[94:95], v177
	v_fma_f64 v[96:97], v[26:27], v[96:97], -v[98:99]
	v_fma_f64 v[98:99], v[56:57], v[100:101], -v[86:87]
	v_fma_f64 v[26:27], v[32:33], s[0:1], v[80:81]
	v_add_f64 v[86:87], v[110:111], v[102:103]
	s_waitcnt lgkmcnt(0)
	v_fma_f64 v[100:101], v[106:107], -0.5, v[94:95]
	v_add_f64 v[104:105], v[60:61], -v[90:91]
	v_fma_f64 v[56:57], v[32:33], s[0:1], v[38:39]
	v_add_f64 v[80:81], v[14:15], v[88:89]
	v_add_f64 v[32:33], v[110:111], -v[68:69]
	v_add_f64 v[38:39], v[96:97], -v[98:99]
	v_add_f64 v[106:107], v[102:103], -v[136:137]
	v_fma_f64 v[86:87], v[86:87], -0.5, v[94:95]
	v_add_f64 v[108:109], v[68:69], -v[110:111]
	v_fma_f64 v[14:15], v[104:105], s[4:5], v[100:101]
	v_fma_f64 v[88:89], v[104:105], s[10:11], v[100:101]
	v_add_f64 v[100:101], v[96:97], v[98:99]
	v_add_f64 v[122:123], v[136:137], -v[102:103]
	v_add_f64 v[94:95], v[68:69], v[94:95]
	v_add_f64 v[138:139], v[110:111], -v[102:103]
	v_fma_f64 v[134:135], v[38:39], s[10:11], v[86:87]
	v_add_f64 v[32:33], v[32:33], v[106:107]
	v_fma_f64 v[14:15], v[38:39], s[2:3], v[14:15]
	v_fma_f64 v[86:87], v[38:39], s[4:5], v[86:87]
	v_fma_f64 v[100:101], v[100:101], -0.5, v[84:85]
	v_add_f64 v[108:109], v[108:109], v[122:123]
	v_add_f64 v[94:95], v[110:111], v[94:95]
	;; [unrolled: 1-line block ×3, first 2 shown]
	v_fma_f64 v[122:123], v[104:105], s[2:3], v[134:135]
	v_add_f64 v[134:135], v[60:61], -v[96:97]
	v_add_f64 v[140:141], v[90:91], -v[98:99]
	;; [unrolled: 1-line block ×3, first 2 shown]
	v_fma_f64 v[142:143], v[138:139], s[10:11], v[100:101]
	v_fma_f64 v[106:107], v[38:39], s[6:7], v[88:89]
	;; [unrolled: 1-line block ×3, first 2 shown]
	v_fma_f64 v[14:15], v[110:111], -0.5, v[84:85]
	v_fma_f64 v[68:69], v[104:105], s[6:7], v[86:87]
	v_add_f64 v[86:87], v[102:103], v[94:95]
	v_add_f64 v[102:103], v[134:135], v[140:141]
	v_fma_f64 v[38:39], v[108:109], s[0:1], v[122:123]
	v_fma_f64 v[104:105], v[144:145], s[6:7], v[142:143]
	;; [unrolled: 1-line block ×3, first 2 shown]
	v_add_f64 v[106:107], v[96:97], -v[60:61]
	v_add_f64 v[110:111], v[98:99], -v[90:91]
	v_fma_f64 v[122:123], v[144:145], s[4:5], v[14:15]
	v_fma_f64 v[68:69], v[108:109], s[0:1], v[68:69]
	v_add_f64 v[94:95], v[136:137], v[86:87]
	s_waitcnt vmcnt(3)
	v_mul_f64 v[108:109], v[112:113], v[120:121]
	v_fma_f64 v[86:87], v[102:103], s[0:1], v[104:105]
	s_waitcnt vmcnt(2)
	v_mul_f64 v[104:105], v[116:117], v[66:67]
	s_waitcnt vmcnt(1)
	v_mul_f64 v[134:135], v[124:125], v[132:133]
	v_add_f64 v[106:107], v[106:107], v[110:111]
	v_fma_f64 v[110:111], v[138:139], s[6:7], v[122:123]
	s_waitcnt vmcnt(0)
	v_mul_f64 v[122:123], v[128:129], v[70:71]
	v_mul_f64 v[70:71], v[130:131], v[70:71]
	v_fma_f64 v[108:109], v[24:25], v[114:115], v[108:109]
	v_mul_f64 v[132:133], v[126:127], v[132:133]
	v_fma_f64 v[104:105], v[30:31], v[118:119], v[104:105]
	v_fma_f64 v[100:101], v[138:139], s[4:5], v[100:101]
	v_fma_f64 v[14:15], v[144:145], s[10:11], v[14:15]
	v_add_f64 v[84:85], v[84:85], v[96:97]
	v_fma_f64 v[96:97], v[34:35], v[130:131], v[122:123]
	v_mul_f64 v[114:115], v[114:115], v[120:121]
	v_mul_f64 v[66:67], v[118:119], v[66:67]
	v_fma_f64 v[118:119], v[36:37], v[126:127], v[134:135]
	v_add_f64 v[120:121], v[108:109], v[104:105]
	v_fma_f64 v[34:35], v[34:35], v[128:129], -v[70:71]
	v_fma_f64 v[70:71], v[36:37], v[124:125], -v[132:133]
	v_fma_f64 v[100:101], v[144:145], s[2:3], v[100:101]
	v_fma_f64 v[14:15], v[138:139], s[2:3], v[14:15]
	v_add_f64 v[60:61], v[60:61], v[84:85]
	v_fma_f64 v[24:25], v[24:25], v[112:113], -v[114:115]
	v_fma_f64 v[84:85], v[30:31], v[116:117], -v[66:67]
	v_add_f64 v[66:67], v[96:97], v[118:119]
	v_fma_f64 v[114:115], v[120:121], -0.5, v[92:93]
	v_add_f64 v[116:117], v[34:35], -v[70:71]
	v_add_f64 v[112:113], v[96:97], -v[108:109]
	;; [unrolled: 1-line block ×3, first 2 shown]
	v_fma_f64 v[30:31], v[102:103], s[0:1], v[100:101]
	v_fma_f64 v[36:37], v[106:107], s[0:1], v[110:111]
	v_add_f64 v[100:101], v[24:25], -v[84:85]
	v_fma_f64 v[102:103], v[66:67], -0.5, v[92:93]
	v_fma_f64 v[66:67], v[106:107], s[0:1], v[14:15]
	v_add_f64 v[14:15], v[60:61], v[90:91]
	v_fma_f64 v[60:61], v[116:117], s[4:5], v[114:115]
	v_fma_f64 v[106:107], v[116:117], s[10:11], v[114:115]
	v_add_f64 v[90:91], v[112:113], v[120:121]
	v_add_f64 v[110:111], v[108:109], -v[96:97]
	v_add_f64 v[112:113], v[104:105], -v[118:119]
	v_fma_f64 v[114:115], v[100:101], s[10:11], v[102:103]
	v_fma_f64 v[102:103], v[100:101], s[4:5], v[102:103]
	v_add_f64 v[120:121], v[108:109], v[92:93]
	v_fma_f64 v[60:61], v[100:101], s[2:3], v[60:61]
	v_add_f64 v[92:93], v[14:15], v[98:99]
	;; [unrolled: 2-line block ×3, first 2 shown]
	v_add_f64 v[106:107], v[110:111], v[112:113]
	v_fma_f64 v[110:111], v[116:117], s[2:3], v[114:115]
	v_fma_f64 v[112:113], v[116:117], s[6:7], v[102:103]
	v_add_f64 v[114:115], v[96:97], v[120:121]
	v_fma_f64 v[14:15], v[90:91], s[0:1], v[60:61]
	v_add_f64 v[60:61], v[34:35], v[70:71]
	v_fma_f64 v[98:99], v[90:91], s[0:1], v[98:99]
	v_fma_f64 v[90:91], v[100:101], -0.5, v[12:13]
	v_add_f64 v[96:97], v[96:97], -v[118:119]
	v_add_f64 v[108:109], v[108:109], -v[104:105]
	v_fma_f64 v[102:103], v[106:107], s[0:1], v[110:111]
	v_fma_f64 v[106:107], v[106:107], s[0:1], v[112:113]
	v_add_f64 v[100:101], v[118:119], v[114:115]
	v_fma_f64 v[60:61], v[60:61], -0.5, v[12:13]
	v_add_f64 v[12:13], v[12:13], v[24:25]
	v_add_f64 v[112:113], v[34:35], -v[24:25]
	v_add_f64 v[114:115], v[70:71], -v[84:85]
	v_fma_f64 v[116:117], v[96:97], s[10:11], v[90:91]
	v_fma_f64 v[90:91], v[96:97], s[4:5], v[90:91]
	v_add_f64 v[24:25], v[24:25], -v[34:35]
	v_add_f64 v[118:119], v[84:85], -v[70:71]
	v_fma_f64 v[120:121], v[108:109], s[4:5], v[60:61]
	v_fma_f64 v[60:61], v[108:109], s[10:11], v[60:61]
	v_add_f64 v[12:13], v[34:35], v[12:13]
	v_add_f64 v[110:111], v[104:105], v[100:101]
	;; [unrolled: 1-line block ×3, first 2 shown]
	v_fma_f64 v[34:35], v[108:109], s[6:7], v[116:117]
	v_fma_f64 v[90:91], v[108:109], s[2:3], v[90:91]
	v_add_f64 v[24:25], v[24:25], v[118:119]
	v_fma_f64 v[104:105], v[96:97], s[6:7], v[120:121]
	v_fma_f64 v[60:61], v[96:97], s[2:3], v[60:61]
	v_mad_u64_u32 v[112:113], s[2:3], s12, v192, 0
	v_add_f64 v[70:71], v[12:13], v[70:71]
	v_fma_f64 v[12:13], v[100:101], s[0:1], v[34:35]
	v_mov_b32_e32 v34, v113
	v_mad_u64_u32 v[34:35], s[2:3], s13, v192, v[34:35]
	v_fma_f64 v[96:97], v[100:101], s[0:1], v[90:91]
	v_fma_f64 v[100:101], v[24:25], s[0:1], v[104:105]
	;; [unrolled: 1-line block ×3, first 2 shown]
	v_mov_b32_e32 v113, v34
	v_mad_u64_u32 v[34:35], s[0:1], s12, v176, 0
	v_add_f64 v[108:109], v[70:71], v[84:85]
	v_mov_b32_e32 v24, s15
	v_mad_u64_u32 v[60:61], s[0:1], s13, v176, v[35:36]
	v_add_co_u32_e32 v84, vcc, s14, v170
	v_add_u32_e32 v61, 0x384, v192
	v_addc_co_u32_e32 v85, vcc, v24, v171, vcc
	v_lshlrev_b64 v[24:25], 4, v[112:113]
	v_mad_u64_u32 v[70:71], s[0:1], s12, v61, 0
	v_add_co_u32_e32 v24, vcc, v84, v24
	v_addc_co_u32_e32 v25, vcc, v85, v25, vcc
	v_mov_b32_e32 v35, v60
	global_store_dwordx4 v[24:25], v[108:111], off
	v_lshlrev_b64 v[24:25], 4, v[34:35]
	v_mov_b32_e32 v34, v71
	v_mad_u64_u32 v[34:35], s[0:1], s13, v61, v[34:35]
	v_add_u32_e32 v60, 0x546, v192
	v_add_co_u32_e32 v24, vcc, v84, v24
	v_mov_b32_e32 v71, v34
	v_mad_u64_u32 v[34:35], s[0:1], s12, v60, 0
	v_addc_co_u32_e32 v25, vcc, v85, v25, vcc
	v_mad_u64_u32 v[60:61], s[0:1], s13, v60, v[35:36]
	global_store_dwordx4 v[24:25], v[104:107], off
	v_lshlrev_b64 v[24:25], 4, v[70:71]
	v_add_u32_e32 v61, 0x708, v192
	v_add_co_u32_e32 v24, vcc, v84, v24
	v_addc_co_u32_e32 v25, vcc, v85, v25, vcc
	v_mov_b32_e32 v35, v60
	v_mad_u64_u32 v[70:71], s[0:1], s12, v61, 0
	global_store_dwordx4 v[24:25], v[96:99], off
	v_lshlrev_b64 v[24:25], 4, v[34:35]
	v_mov_b32_e32 v34, v71
	v_add_co_u32_e32 v24, vcc, v84, v24
	v_addc_co_u32_e32 v25, vcc, v85, v25, vcc
	global_store_dwordx4 v[24:25], v[12:15], off
	v_add_u32_e32 v24, 0x5a, v192
	v_mad_u64_u32 v[34:35], s[0:1], s13, v61, v[34:35]
	v_mad_u64_u32 v[14:15], s[2:3], s12, v24, 0
	v_mov_b32_e32 v71, v34
	v_lshlrev_b64 v[12:13], 4, v[70:71]
	v_mad_u64_u32 v[24:25], s[2:3], s13, v24, v[15:16]
	v_mad_u64_u32 v[34:35], s[2:3], s12, v175, 0
	v_add_co_u32_e32 v12, vcc, v84, v12
	v_addc_co_u32_e32 v13, vcc, v85, v13, vcc
	v_mov_b32_e32 v15, v24
	global_store_dwordx4 v[12:13], v[100:103], off
	v_lshlrev_b64 v[12:13], 4, v[14:15]
	v_mov_b32_e32 v14, v35
	v_mad_u64_u32 v[14:15], s[2:3], s13, v175, v[14:15]
	v_add_u32_e32 v24, 0x3de, v192
	v_add_co_u32_e32 v12, vcc, v84, v12
	v_mov_b32_e32 v35, v14
	v_mad_u64_u32 v[14:15], s[2:3], s12, v24, 0
	v_addc_co_u32_e32 v13, vcc, v85, v13, vcc
	v_mad_u64_u32 v[24:25], s[2:3], s13, v24, v[15:16]
	v_add_u32_e32 v25, 0x5a0, v192
	global_store_dwordx4 v[12:13], v[92:95], off
	v_lshlrev_b64 v[12:13], 4, v[34:35]
	v_mad_u64_u32 v[34:35], s[2:3], s12, v25, 0
	v_add_co_u32_e32 v12, vcc, v84, v12
	v_addc_co_u32_e32 v13, vcc, v85, v13, vcc
	v_mov_b32_e32 v15, v24
	global_store_dwordx4 v[12:13], v[66:69], off
	v_lshlrev_b64 v[12:13], 4, v[14:15]
	v_mov_b32_e32 v14, v35
	v_mad_u64_u32 v[14:15], s[2:3], s13, v25, v[14:15]
	v_add_co_u32_e32 v12, vcc, v84, v12
	v_addc_co_u32_e32 v13, vcc, v85, v13, vcc
	v_add_u32_e32 v24, 0x762, v192
	s_mov_b32 s1, 0x91a2b3c5
	global_store_dwordx4 v[12:13], v[30:33], off
	v_mov_b32_e32 v35, v14
	v_mad_u64_u32 v[14:15], s[2:3], s12, v24, 0
	v_mul_hi_u32 v30, v172, s1
	s_movk_i32 s0, 0x708
	v_mad_u64_u32 v[24:25], s[2:3], s13, v24, v[15:16]
	v_lshrrev_b32_e32 v15, 8, v30
	v_mad_u32_u24 v32, v15, s0, v172
	v_lshlrev_b64 v[12:13], 4, v[34:35]
	v_mad_u64_u32 v[30:31], s[2:3], s12, v32, 0
	v_add_co_u32_e32 v12, vcc, v84, v12
	v_addc_co_u32_e32 v13, vcc, v85, v13, vcc
	v_mov_b32_e32 v15, v24
	global_store_dwordx4 v[12:13], v[86:89], off
	v_lshlrev_b64 v[12:13], 4, v[14:15]
	v_mov_b32_e32 v14, v31
	v_mad_u64_u32 v[14:15], s[2:3], s13, v32, v[14:15]
	v_add_u32_e32 v24, 0x1c2, v32
	v_add_co_u32_e32 v12, vcc, v84, v12
	v_mov_b32_e32 v31, v14
	v_mad_u64_u32 v[14:15], s[2:3], s12, v24, 0
	v_addc_co_u32_e32 v13, vcc, v85, v13, vcc
	v_mad_u64_u32 v[24:25], s[2:3], s13, v24, v[15:16]
	v_add_u32_e32 v25, 0x384, v32
	global_store_dwordx4 v[12:13], v[36:39], off
	v_lshlrev_b64 v[12:13], 4, v[30:31]
	v_mad_u64_u32 v[30:31], s[2:3], s12, v25, 0
	v_add_co_u32_e32 v12, vcc, v84, v12
	v_addc_co_u32_e32 v13, vcc, v85, v13, vcc
	v_mov_b32_e32 v15, v24
	global_store_dwordx4 v[12:13], v[80:83], off
	v_lshlrev_b64 v[12:13], 4, v[14:15]
	v_mov_b32_e32 v14, v31
	v_mad_u64_u32 v[14:15], s[2:3], s13, v25, v[14:15]
	v_add_u32_e32 v24, 0x546, v32
	v_add_co_u32_e32 v12, vcc, v84, v12
	v_mov_b32_e32 v31, v14
	v_mad_u64_u32 v[14:15], s[2:3], s12, v24, 0
	v_addc_co_u32_e32 v13, vcc, v85, v13, vcc
	v_mad_u64_u32 v[24:25], s[2:3], s13, v24, v[15:16]
	v_add_u32_e32 v25, 0x708, v32
	global_store_dwordx4 v[12:13], v[56:59], off
	v_lshlrev_b64 v[12:13], 4, v[30:31]
	v_mad_u64_u32 v[30:31], s[2:3], s12, v25, 0
	v_add_co_u32_e32 v12, vcc, v84, v12
	v_addc_co_u32_e32 v13, vcc, v85, v13, vcc
	v_mov_b32_e32 v15, v24
	global_store_dwordx4 v[12:13], v[76:79], off
	v_lshlrev_b64 v[12:13], 4, v[14:15]
	v_mov_b32_e32 v14, v31
	v_mad_u64_u32 v[14:15], s[2:3], s13, v25, v[14:15]
	v_mul_hi_u32 v15, v173, s1
	v_add_co_u32_e32 v12, vcc, v84, v12
	v_mov_b32_e32 v31, v14
	v_lshrrev_b32_e32 v14, 8, v15
	v_mad_u32_u24 v32, v14, s0, v173
	v_mad_u64_u32 v[14:15], s[2:3], s12, v32, 0
	v_addc_co_u32_e32 v13, vcc, v85, v13, vcc
	v_mad_u64_u32 v[24:25], s[2:3], s13, v32, v[15:16]
	v_add_u32_e32 v25, 0x1c2, v32
	global_store_dwordx4 v[12:13], v[72:75], off
	v_lshlrev_b64 v[12:13], 4, v[30:31]
	v_mad_u64_u32 v[30:31], s[2:3], s12, v25, 0
	v_add_co_u32_e32 v12, vcc, v84, v12
	v_addc_co_u32_e32 v13, vcc, v85, v13, vcc
	v_mov_b32_e32 v15, v24
	global_store_dwordx4 v[12:13], v[26:29], off
	v_lshlrev_b64 v[12:13], 4, v[14:15]
	v_mov_b32_e32 v14, v31
	v_mad_u64_u32 v[14:15], s[2:3], s13, v25, v[14:15]
	v_add_u32_e32 v24, 0x384, v32
	v_add_co_u32_e32 v12, vcc, v84, v12
	v_mov_b32_e32 v31, v14
	v_mad_u64_u32 v[14:15], s[2:3], s12, v24, 0
	v_addc_co_u32_e32 v13, vcc, v85, v13, vcc
	v_mad_u64_u32 v[24:25], s[2:3], s13, v24, v[15:16]
	v_add_u32_e32 v27, 0x546, v32
	global_store_dwordx4 v[12:13], v[62:65], off
	v_lshlrev_b64 v[12:13], 4, v[30:31]
	v_mad_u64_u32 v[25:26], s[2:3], s12, v27, 0
	v_add_co_u32_e32 v12, vcc, v84, v12
	v_addc_co_u32_e32 v13, vcc, v85, v13, vcc
	v_mov_b32_e32 v15, v24
	global_store_dwordx4 v[12:13], v[52:55], off
	v_lshlrev_b64 v[12:13], 4, v[14:15]
	v_mov_b32_e32 v14, v26
	v_mad_u64_u32 v[14:15], s[2:3], s13, v27, v[14:15]
	v_add_co_u32_e32 v12, vcc, v84, v12
	v_addc_co_u32_e32 v13, vcc, v85, v13, vcc
	v_mov_b32_e32 v26, v14
	v_add_u32_e32 v24, 0x708, v32
	global_store_dwordx4 v[12:13], v[48:51], off
	v_lshlrev_b64 v[12:13], 4, v[25:26]
	v_mad_u64_u32 v[14:15], s[2:3], s12, v24, 0
	v_mul_hi_u32 v26, v174, s1
	v_add_co_u32_e32 v12, vcc, v84, v12
	v_mad_u64_u32 v[24:25], s[2:3], s13, v24, v[15:16]
	v_lshrrev_b32_e32 v15, 8, v26
	v_mad_u32_u24 v27, v15, s0, v174
	v_mad_u64_u32 v[25:26], s[0:1], s12, v27, 0
	v_addc_co_u32_e32 v13, vcc, v85, v13, vcc
	v_mov_b32_e32 v15, v24
	global_store_dwordx4 v[12:13], v[44:47], off
	v_lshlrev_b64 v[12:13], 4, v[14:15]
	v_mov_b32_e32 v14, v26
	v_mad_u64_u32 v[14:15], s[0:1], s13, v27, v[14:15]
	v_add_u32_e32 v24, 0x1c2, v27
	v_add_co_u32_e32 v12, vcc, v84, v12
	v_mov_b32_e32 v26, v14
	v_mad_u64_u32 v[14:15], s[0:1], s12, v24, 0
	v_addc_co_u32_e32 v13, vcc, v85, v13, vcc
	global_store_dwordx4 v[12:13], v[40:43], off
	v_lshlrev_b64 v[12:13], 4, v[25:26]
	v_mad_u64_u32 v[24:25], s[0:1], s13, v24, v[15:16]
	v_add_u32_e32 v28, 0x384, v27
	v_mad_u64_u32 v[25:26], s[0:1], s12, v28, 0
	v_add_co_u32_e32 v12, vcc, v84, v12
	v_addc_co_u32_e32 v13, vcc, v85, v13, vcc
	v_mov_b32_e32 v15, v24
	global_store_dwordx4 v[12:13], v[20:23], off
	v_lshlrev_b64 v[12:13], 4, v[14:15]
	v_mov_b32_e32 v14, v26
	v_mad_u64_u32 v[14:15], s[0:1], s13, v28, v[14:15]
	v_add_co_u32_e32 v12, vcc, v84, v12
	v_addc_co_u32_e32 v13, vcc, v85, v13, vcc
	global_store_dwordx4 v[12:13], v[16:19], off
	v_mov_b32_e32 v26, v14
	v_add_u32_e32 v16, 0x546, v27
	v_mad_u64_u32 v[14:15], s[0:1], s12, v16, 0
	v_add_u32_e32 v18, 0x708, v27
	v_lshlrev_b64 v[12:13], 4, v[25:26]
	v_mad_u64_u32 v[15:16], s[0:1], s13, v16, v[15:16]
	v_mad_u64_u32 v[16:17], s[0:1], s12, v18, 0
	v_add_co_u32_e32 v12, vcc, v84, v12
	v_addc_co_u32_e32 v13, vcc, v85, v13, vcc
	global_store_dwordx4 v[12:13], v[8:11], off
	s_nop 0
	v_mov_b32_e32 v10, v17
	v_mad_u64_u32 v[10:11], s[0:1], s13, v18, v[10:11]
	v_lshlrev_b64 v[8:9], 4, v[14:15]
	v_add_co_u32_e32 v8, vcc, v84, v8
	v_addc_co_u32_e32 v9, vcc, v85, v9, vcc
	v_mov_b32_e32 v17, v10
	global_store_dwordx4 v[8:9], v[4:7], off
	s_nop 0
	v_lshlrev_b64 v[4:5], 4, v[16:17]
	v_add_co_u32_e32 v4, vcc, v84, v4
	v_addc_co_u32_e32 v5, vcc, v85, v5, vcc
	global_store_dwordx4 v[4:5], v[0:3], off
.LBB0_37:
	s_endpgm
	.section	.rodata,"a",@progbits
	.p2align	6, 0x0
	.amdhsa_kernel fft_rtc_fwd_len2250_factors_10_3_5_3_5_wgs_90_tpt_90_halfLds_dp_ip_CI_sbrr_dirReg
		.amdhsa_group_segment_fixed_size 0
		.amdhsa_private_segment_fixed_size 0
		.amdhsa_kernarg_size 88
		.amdhsa_user_sgpr_count 6
		.amdhsa_user_sgpr_private_segment_buffer 1
		.amdhsa_user_sgpr_dispatch_ptr 0
		.amdhsa_user_sgpr_queue_ptr 0
		.amdhsa_user_sgpr_kernarg_segment_ptr 1
		.amdhsa_user_sgpr_dispatch_id 0
		.amdhsa_user_sgpr_flat_scratch_init 0
		.amdhsa_user_sgpr_private_segment_size 0
		.amdhsa_uses_dynamic_stack 0
		.amdhsa_system_sgpr_private_segment_wavefront_offset 0
		.amdhsa_system_sgpr_workgroup_id_x 1
		.amdhsa_system_sgpr_workgroup_id_y 0
		.amdhsa_system_sgpr_workgroup_id_z 0
		.amdhsa_system_sgpr_workgroup_info 0
		.amdhsa_system_vgpr_workitem_id 0
		.amdhsa_next_free_vgpr 255
		.amdhsa_next_free_sgpr 24
		.amdhsa_reserve_vcc 1
		.amdhsa_reserve_flat_scratch 0
		.amdhsa_float_round_mode_32 0
		.amdhsa_float_round_mode_16_64 0
		.amdhsa_float_denorm_mode_32 3
		.amdhsa_float_denorm_mode_16_64 3
		.amdhsa_dx10_clamp 1
		.amdhsa_ieee_mode 1
		.amdhsa_fp16_overflow 0
		.amdhsa_exception_fp_ieee_invalid_op 0
		.amdhsa_exception_fp_denorm_src 0
		.amdhsa_exception_fp_ieee_div_zero 0
		.amdhsa_exception_fp_ieee_overflow 0
		.amdhsa_exception_fp_ieee_underflow 0
		.amdhsa_exception_fp_ieee_inexact 0
		.amdhsa_exception_int_div_zero 0
	.end_amdhsa_kernel
	.text
.Lfunc_end0:
	.size	fft_rtc_fwd_len2250_factors_10_3_5_3_5_wgs_90_tpt_90_halfLds_dp_ip_CI_sbrr_dirReg, .Lfunc_end0-fft_rtc_fwd_len2250_factors_10_3_5_3_5_wgs_90_tpt_90_halfLds_dp_ip_CI_sbrr_dirReg
                                        ; -- End function
	.section	.AMDGPU.csdata,"",@progbits
; Kernel info:
; codeLenInByte = 22352
; NumSgprs: 28
; NumVgprs: 255
; ScratchSize: 0
; MemoryBound: 1
; FloatMode: 240
; IeeeMode: 1
; LDSByteSize: 0 bytes/workgroup (compile time only)
; SGPRBlocks: 3
; VGPRBlocks: 63
; NumSGPRsForWavesPerEU: 28
; NumVGPRsForWavesPerEU: 255
; Occupancy: 1
; WaveLimiterHint : 1
; COMPUTE_PGM_RSRC2:SCRATCH_EN: 0
; COMPUTE_PGM_RSRC2:USER_SGPR: 6
; COMPUTE_PGM_RSRC2:TRAP_HANDLER: 0
; COMPUTE_PGM_RSRC2:TGID_X_EN: 1
; COMPUTE_PGM_RSRC2:TGID_Y_EN: 0
; COMPUTE_PGM_RSRC2:TGID_Z_EN: 0
; COMPUTE_PGM_RSRC2:TIDIG_COMP_CNT: 0
	.type	__hip_cuid_c05e478545a4c6dd,@object ; @__hip_cuid_c05e478545a4c6dd
	.section	.bss,"aw",@nobits
	.globl	__hip_cuid_c05e478545a4c6dd
__hip_cuid_c05e478545a4c6dd:
	.byte	0                               ; 0x0
	.size	__hip_cuid_c05e478545a4c6dd, 1

	.ident	"AMD clang version 19.0.0git (https://github.com/RadeonOpenCompute/llvm-project roc-6.4.0 25133 c7fe45cf4b819c5991fe208aaa96edf142730f1d)"
	.section	".note.GNU-stack","",@progbits
	.addrsig
	.addrsig_sym __hip_cuid_c05e478545a4c6dd
	.amdgpu_metadata
---
amdhsa.kernels:
  - .args:
      - .actual_access:  read_only
        .address_space:  global
        .offset:         0
        .size:           8
        .value_kind:     global_buffer
      - .offset:         8
        .size:           8
        .value_kind:     by_value
      - .actual_access:  read_only
        .address_space:  global
        .offset:         16
        .size:           8
        .value_kind:     global_buffer
      - .actual_access:  read_only
        .address_space:  global
        .offset:         24
        .size:           8
        .value_kind:     global_buffer
      - .offset:         32
        .size:           8
        .value_kind:     by_value
      - .actual_access:  read_only
        .address_space:  global
        .offset:         40
        .size:           8
        .value_kind:     global_buffer
      - .actual_access:  read_only
        .address_space:  global
        .offset:         48
        .size:           8
        .value_kind:     global_buffer
      - .offset:         56
        .size:           4
        .value_kind:     by_value
      - .actual_access:  read_only
        .address_space:  global
        .offset:         64
        .size:           8
        .value_kind:     global_buffer
      - .actual_access:  read_only
        .address_space:  global
        .offset:         72
        .size:           8
        .value_kind:     global_buffer
      - .address_space:  global
        .offset:         80
        .size:           8
        .value_kind:     global_buffer
    .group_segment_fixed_size: 0
    .kernarg_segment_align: 8
    .kernarg_segment_size: 88
    .language:       OpenCL C
    .language_version:
      - 2
      - 0
    .max_flat_workgroup_size: 90
    .name:           fft_rtc_fwd_len2250_factors_10_3_5_3_5_wgs_90_tpt_90_halfLds_dp_ip_CI_sbrr_dirReg
    .private_segment_fixed_size: 0
    .sgpr_count:     28
    .sgpr_spill_count: 0
    .symbol:         fft_rtc_fwd_len2250_factors_10_3_5_3_5_wgs_90_tpt_90_halfLds_dp_ip_CI_sbrr_dirReg.kd
    .uniform_work_group_size: 1
    .uses_dynamic_stack: false
    .vgpr_count:     255
    .vgpr_spill_count: 0
    .wavefront_size: 64
amdhsa.target:   amdgcn-amd-amdhsa--gfx906
amdhsa.version:
  - 1
  - 2
...

	.end_amdgpu_metadata
